;; amdgpu-corpus repo=ROCm/rocFFT kind=compiled arch=gfx906 opt=O3
	.text
	.amdgcn_target "amdgcn-amd-amdhsa--gfx906"
	.amdhsa_code_object_version 6
	.protected	fft_rtc_back_len1375_factors_11_5_5_5_wgs_55_tpt_55_halfLds_half_ip_CI_sbrr_dirReg ; -- Begin function fft_rtc_back_len1375_factors_11_5_5_5_wgs_55_tpt_55_halfLds_half_ip_CI_sbrr_dirReg
	.globl	fft_rtc_back_len1375_factors_11_5_5_5_wgs_55_tpt_55_halfLds_half_ip_CI_sbrr_dirReg
	.p2align	8
	.type	fft_rtc_back_len1375_factors_11_5_5_5_wgs_55_tpt_55_halfLds_half_ip_CI_sbrr_dirReg,@function
fft_rtc_back_len1375_factors_11_5_5_5_wgs_55_tpt_55_halfLds_half_ip_CI_sbrr_dirReg: ; @fft_rtc_back_len1375_factors_11_5_5_5_wgs_55_tpt_55_halfLds_half_ip_CI_sbrr_dirReg
; %bb.0:
	s_load_dwordx2 s[14:15], s[4:5], 0x18
	s_load_dwordx4 s[8:11], s[4:5], 0x0
	s_load_dwordx2 s[12:13], s[4:5], 0x50
	v_mul_u32_u24_e32 v1, 0x4a8, v0
	v_add_u32_sdwa v5, s6, v1 dst_sel:DWORD dst_unused:UNUSED_PAD src0_sel:DWORD src1_sel:WORD_1
	s_waitcnt lgkmcnt(0)
	s_load_dwordx2 s[2:3], s[14:15], 0x0
	v_cmp_lt_u64_e64 s[0:1], s[10:11], 2
	v_mov_b32_e32 v3, 0
	v_mov_b32_e32 v1, 0
	;; [unrolled: 1-line block ×3, first 2 shown]
	s_and_b64 vcc, exec, s[0:1]
	v_mov_b32_e32 v2, 0
	s_cbranch_vccnz .LBB0_8
; %bb.1:
	s_load_dwordx2 s[0:1], s[4:5], 0x10
	s_add_u32 s6, s14, 8
	s_addc_u32 s7, s15, 0
	v_mov_b32_e32 v1, 0
	v_mov_b32_e32 v2, 0
	s_waitcnt lgkmcnt(0)
	s_add_u32 s16, s0, 8
	s_addc_u32 s17, s1, 0
	s_mov_b64 s[18:19], 1
.LBB0_2:                                ; =>This Inner Loop Header: Depth=1
	s_load_dwordx2 s[20:21], s[16:17], 0x0
                                        ; implicit-def: $vgpr7_vgpr8
	s_waitcnt lgkmcnt(0)
	v_or_b32_e32 v4, s21, v6
	v_cmp_ne_u64_e32 vcc, 0, v[3:4]
	s_and_saveexec_b64 s[0:1], vcc
	s_xor_b64 s[22:23], exec, s[0:1]
	s_cbranch_execz .LBB0_4
; %bb.3:                                ;   in Loop: Header=BB0_2 Depth=1
	v_cvt_f32_u32_e32 v4, s20
	v_cvt_f32_u32_e32 v7, s21
	s_sub_u32 s0, 0, s20
	s_subb_u32 s1, 0, s21
	v_mac_f32_e32 v4, 0x4f800000, v7
	v_rcp_f32_e32 v4, v4
	v_mul_f32_e32 v4, 0x5f7ffffc, v4
	v_mul_f32_e32 v7, 0x2f800000, v4
	v_trunc_f32_e32 v7, v7
	v_mac_f32_e32 v4, 0xcf800000, v7
	v_cvt_u32_f32_e32 v7, v7
	v_cvt_u32_f32_e32 v4, v4
	v_mul_lo_u32 v8, s0, v7
	v_mul_hi_u32 v9, s0, v4
	v_mul_lo_u32 v11, s1, v4
	v_mul_lo_u32 v10, s0, v4
	v_add_u32_e32 v8, v9, v8
	v_add_u32_e32 v8, v8, v11
	v_mul_hi_u32 v9, v4, v10
	v_mul_lo_u32 v11, v4, v8
	v_mul_hi_u32 v13, v4, v8
	v_mul_hi_u32 v12, v7, v10
	v_mul_lo_u32 v10, v7, v10
	v_mul_hi_u32 v14, v7, v8
	v_add_co_u32_e32 v9, vcc, v9, v11
	v_addc_co_u32_e32 v11, vcc, 0, v13, vcc
	v_mul_lo_u32 v8, v7, v8
	v_add_co_u32_e32 v9, vcc, v9, v10
	v_addc_co_u32_e32 v9, vcc, v11, v12, vcc
	v_addc_co_u32_e32 v10, vcc, 0, v14, vcc
	v_add_co_u32_e32 v8, vcc, v9, v8
	v_addc_co_u32_e32 v9, vcc, 0, v10, vcc
	v_add_co_u32_e32 v4, vcc, v4, v8
	v_addc_co_u32_e32 v7, vcc, v7, v9, vcc
	v_mul_lo_u32 v8, s0, v7
	v_mul_hi_u32 v9, s0, v4
	v_mul_lo_u32 v10, s1, v4
	v_mul_lo_u32 v11, s0, v4
	v_add_u32_e32 v8, v9, v8
	v_add_u32_e32 v8, v8, v10
	v_mul_lo_u32 v12, v4, v8
	v_mul_hi_u32 v13, v4, v11
	v_mul_hi_u32 v14, v4, v8
	;; [unrolled: 1-line block ×3, first 2 shown]
	v_mul_lo_u32 v11, v7, v11
	v_mul_hi_u32 v9, v7, v8
	v_add_co_u32_e32 v12, vcc, v13, v12
	v_addc_co_u32_e32 v13, vcc, 0, v14, vcc
	v_mul_lo_u32 v8, v7, v8
	v_add_co_u32_e32 v11, vcc, v12, v11
	v_addc_co_u32_e32 v10, vcc, v13, v10, vcc
	v_addc_co_u32_e32 v9, vcc, 0, v9, vcc
	v_add_co_u32_e32 v8, vcc, v10, v8
	v_addc_co_u32_e32 v9, vcc, 0, v9, vcc
	v_add_co_u32_e32 v4, vcc, v4, v8
	v_addc_co_u32_e32 v9, vcc, v7, v9, vcc
	v_mad_u64_u32 v[7:8], s[0:1], v5, v9, 0
	v_mul_hi_u32 v10, v5, v4
	v_add_co_u32_e32 v11, vcc, v10, v7
	v_addc_co_u32_e32 v12, vcc, 0, v8, vcc
	v_mad_u64_u32 v[7:8], s[0:1], v6, v4, 0
	v_mad_u64_u32 v[9:10], s[0:1], v6, v9, 0
	v_add_co_u32_e32 v4, vcc, v11, v7
	v_addc_co_u32_e32 v4, vcc, v12, v8, vcc
	v_addc_co_u32_e32 v7, vcc, 0, v10, vcc
	v_add_co_u32_e32 v4, vcc, v4, v9
	v_addc_co_u32_e32 v9, vcc, 0, v7, vcc
	v_mul_lo_u32 v10, s21, v4
	v_mul_lo_u32 v11, s20, v9
	v_mad_u64_u32 v[7:8], s[0:1], s20, v4, 0
	v_add3_u32 v8, v8, v11, v10
	v_sub_u32_e32 v10, v6, v8
	v_mov_b32_e32 v11, s21
	v_sub_co_u32_e32 v7, vcc, v5, v7
	v_subb_co_u32_e64 v10, s[0:1], v10, v11, vcc
	v_subrev_co_u32_e64 v11, s[0:1], s20, v7
	v_subbrev_co_u32_e64 v10, s[0:1], 0, v10, s[0:1]
	v_cmp_le_u32_e64 s[0:1], s21, v10
	v_cndmask_b32_e64 v12, 0, -1, s[0:1]
	v_cmp_le_u32_e64 s[0:1], s20, v11
	v_cndmask_b32_e64 v11, 0, -1, s[0:1]
	v_cmp_eq_u32_e64 s[0:1], s21, v10
	v_cndmask_b32_e64 v10, v12, v11, s[0:1]
	v_add_co_u32_e64 v11, s[0:1], 2, v4
	v_addc_co_u32_e64 v12, s[0:1], 0, v9, s[0:1]
	v_add_co_u32_e64 v13, s[0:1], 1, v4
	v_addc_co_u32_e64 v14, s[0:1], 0, v9, s[0:1]
	v_subb_co_u32_e32 v8, vcc, v6, v8, vcc
	v_cmp_ne_u32_e64 s[0:1], 0, v10
	v_cmp_le_u32_e32 vcc, s21, v8
	v_cndmask_b32_e64 v10, v14, v12, s[0:1]
	v_cndmask_b32_e64 v12, 0, -1, vcc
	v_cmp_le_u32_e32 vcc, s20, v7
	v_cndmask_b32_e64 v7, 0, -1, vcc
	v_cmp_eq_u32_e32 vcc, s21, v8
	v_cndmask_b32_e32 v7, v12, v7, vcc
	v_cmp_ne_u32_e32 vcc, 0, v7
	v_cndmask_b32_e64 v7, v13, v11, s[0:1]
	v_cndmask_b32_e32 v8, v9, v10, vcc
	v_cndmask_b32_e32 v7, v4, v7, vcc
.LBB0_4:                                ;   in Loop: Header=BB0_2 Depth=1
	s_andn2_saveexec_b64 s[0:1], s[22:23]
	s_cbranch_execz .LBB0_6
; %bb.5:                                ;   in Loop: Header=BB0_2 Depth=1
	v_cvt_f32_u32_e32 v4, s20
	s_sub_i32 s22, 0, s20
	v_rcp_iflag_f32_e32 v4, v4
	v_mul_f32_e32 v4, 0x4f7ffffe, v4
	v_cvt_u32_f32_e32 v4, v4
	v_mul_lo_u32 v7, s22, v4
	v_mul_hi_u32 v7, v4, v7
	v_add_u32_e32 v4, v4, v7
	v_mul_hi_u32 v4, v5, v4
	v_mul_lo_u32 v7, v4, s20
	v_add_u32_e32 v8, 1, v4
	v_sub_u32_e32 v7, v5, v7
	v_subrev_u32_e32 v9, s20, v7
	v_cmp_le_u32_e32 vcc, s20, v7
	v_cndmask_b32_e32 v7, v7, v9, vcc
	v_cndmask_b32_e32 v4, v4, v8, vcc
	v_add_u32_e32 v8, 1, v4
	v_cmp_le_u32_e32 vcc, s20, v7
	v_cndmask_b32_e32 v7, v4, v8, vcc
	v_mov_b32_e32 v8, v3
.LBB0_6:                                ;   in Loop: Header=BB0_2 Depth=1
	s_or_b64 exec, exec, s[0:1]
	v_mul_lo_u32 v4, v8, s20
	v_mul_lo_u32 v11, v7, s21
	v_mad_u64_u32 v[9:10], s[0:1], v7, s20, 0
	s_load_dwordx2 s[0:1], s[6:7], 0x0
	s_add_u32 s18, s18, 1
	v_add3_u32 v4, v10, v11, v4
	v_sub_co_u32_e32 v5, vcc, v5, v9
	v_subb_co_u32_e32 v4, vcc, v6, v4, vcc
	s_waitcnt lgkmcnt(0)
	v_mul_lo_u32 v4, s0, v4
	v_mul_lo_u32 v6, s1, v5
	v_mad_u64_u32 v[1:2], s[0:1], s0, v5, v[1:2]
	s_addc_u32 s19, s19, 0
	s_add_u32 s6, s6, 8
	v_add3_u32 v2, v6, v2, v4
	v_mov_b32_e32 v4, s10
	v_mov_b32_e32 v5, s11
	s_addc_u32 s7, s7, 0
	v_cmp_ge_u64_e32 vcc, s[18:19], v[4:5]
	s_add_u32 s16, s16, 8
	s_addc_u32 s17, s17, 0
	s_cbranch_vccnz .LBB0_9
; %bb.7:                                ;   in Loop: Header=BB0_2 Depth=1
	v_mov_b32_e32 v5, v7
	v_mov_b32_e32 v6, v8
	s_branch .LBB0_2
.LBB0_8:
	v_mov_b32_e32 v8, v6
	v_mov_b32_e32 v7, v5
.LBB0_9:
	s_lshl_b64 s[0:1], s[10:11], 3
	s_add_u32 s0, s14, s0
	s_addc_u32 s1, s15, s1
	s_load_dwordx2 s[6:7], s[0:1], 0x0
	s_load_dwordx2 s[10:11], s[4:5], 0x20
	s_waitcnt lgkmcnt(0)
	v_mad_u64_u32 v[1:2], s[0:1], s6, v7, v[1:2]
	s_mov_b32 s0, 0x4a7904b
	v_mul_lo_u32 v3, s6, v8
	v_mul_lo_u32 v4, s7, v7
	v_mul_hi_u32 v5, v0, s0
	v_cmp_gt_u64_e32 vcc, s[10:11], v[7:8]
	v_cmp_le_u64_e64 s[0:1], s[10:11], v[7:8]
	v_add3_u32 v2, v4, v2, v3
	v_mul_u32_u24_e32 v3, 55, v5
	v_sub_u32_e32 v6, v0, v3
	v_add_u32_e32 v7, 55, v6
                                        ; implicit-def: $sgpr6
                                        ; implicit-def: $vgpr8
	s_and_saveexec_b64 s[4:5], s[0:1]
	s_xor_b64 s[0:1], exec, s[4:5]
; %bb.10:
	v_add_u32_e32 v8, 55, v6
	s_mov_b32 s6, 0
; %bb.11:
	s_or_saveexec_b64 s[4:5], s[0:1]
	v_lshlrev_b64 v[0:1], 2, v[1:2]
	v_mov_b32_e32 v11, s6
	v_mov_b32_e32 v55, s6
                                        ; implicit-def: $vgpr49
                                        ; implicit-def: $vgpr46
                                        ; implicit-def: $vgpr62
                                        ; implicit-def: $vgpr9
                                        ; implicit-def: $vgpr61
                                        ; implicit-def: $vgpr5
                                        ; implicit-def: $vgpr60
                                        ; implicit-def: $vgpr4
                                        ; implicit-def: $vgpr58
                                        ; implicit-def: $vgpr3
                                        ; implicit-def: $vgpr57
                                        ; implicit-def: $vgpr2
                                        ; implicit-def: $vgpr48
                                        ; implicit-def: $vgpr47
                                        ; implicit-def: $vgpr51
                                        ; implicit-def: $vgpr10
                                        ; implicit-def: $vgpr50
                                        ; implicit-def: $vgpr14
                                        ; implicit-def: $vgpr54
                                        ; implicit-def: $vgpr13
                                        ; implicit-def: $vgpr53
                                        ; implicit-def: $vgpr12
                                        ; implicit-def: $vgpr52
                                        ; implicit-def: $vgpr17
                                        ; implicit-def: $vgpr43
                                        ; implicit-def: $vgpr25
                                        ; implicit-def: $vgpr39
                                        ; implicit-def: $vgpr23
                                        ; implicit-def: $vgpr36
                                        ; implicit-def: $vgpr22
                                        ; implicit-def: $vgpr33
                                        ; implicit-def: $vgpr20
                                        ; implicit-def: $vgpr30
                                        ; implicit-def: $vgpr18
                                        ; implicit-def: $vgpr45
                                        ; implicit-def: $vgpr40
                                        ; implicit-def: $vgpr44
                                        ; implicit-def: $vgpr34
                                        ; implicit-def: $vgpr38
                                        ; implicit-def: $vgpr31
                                        ; implicit-def: $vgpr35
                                        ; implicit-def: $vgpr21
                                        ; implicit-def: $vgpr32
                                        ; implicit-def: $vgpr19
                                        ; implicit-def: $vgpr65
                                        ; implicit-def: $vgpr29
                                        ; implicit-def: $vgpr64
                                        ; implicit-def: $vgpr28
                                        ; implicit-def: $vgpr63
                                        ; implicit-def: $vgpr27
                                        ; implicit-def: $vgpr59
                                        ; implicit-def: $vgpr26
                                        ; implicit-def: $vgpr56
                                        ; implicit-def: $vgpr24
                                        ; implicit-def: $vgpr70
                                        ; implicit-def: $vgpr42
                                        ; implicit-def: $vgpr69
                                        ; implicit-def: $vgpr41
                                        ; implicit-def: $vgpr68
                                        ; implicit-def: $vgpr37
                                        ; implicit-def: $vgpr67
                                        ; implicit-def: $vgpr16
                                        ; implicit-def: $vgpr66
                                        ; implicit-def: $vgpr15
	s_xor_b64 exec, exec, s[4:5]
	s_cbranch_execz .LBB0_15
; %bb.12:
	v_mad_u64_u32 v[2:3], s[0:1], s2, v6, 0
	v_add_u32_e32 v10, 0x7d, v6
	v_mov_b32_e32 v9, s13
	v_mad_u64_u32 v[3:4], s[0:1], s3, v6, v[3:4]
	v_mad_u64_u32 v[4:5], s[0:1], s2, v10, 0
	v_add_co_u32_e64 v8, s[0:1], s12, v0
	v_addc_co_u32_e64 v48, s[0:1], v9, v1, s[0:1]
	v_mad_u64_u32 v[9:10], s[0:1], s3, v10, v[5:6]
	v_add_u32_e32 v14, 0xfa, v6
	v_mad_u64_u32 v[10:11], s[0:1], s2, v14, 0
	v_lshlrev_b64 v[2:3], 2, v[2:3]
	v_mov_b32_e32 v5, v9
	v_add_co_u32_e64 v12, s[0:1], v8, v2
	v_addc_co_u32_e64 v13, s[0:1], v48, v3, s[0:1]
	v_lshlrev_b64 v[2:3], 2, v[4:5]
	v_mov_b32_e32 v4, v11
	v_mad_u64_u32 v[4:5], s[0:1], s3, v14, v[4:5]
	v_add_u32_e32 v5, 0x177, v6
	v_mad_u64_u32 v[14:15], s[0:1], s2, v5, 0
	v_add_co_u32_e64 v17, s[0:1], v8, v2
	v_mov_b32_e32 v11, v4
	v_mov_b32_e32 v4, v15
	v_addc_co_u32_e64 v18, s[0:1], v48, v3, s[0:1]
	v_mad_u64_u32 v[4:5], s[0:1], s3, v5, v[4:5]
	v_add_u32_e32 v5, 0x1f4, v6
	v_lshlrev_b64 v[2:3], 2, v[10:11]
	v_mad_u64_u32 v[9:10], s[0:1], s2, v5, 0
	v_add_co_u32_e64 v19, s[0:1], v8, v2
	v_mov_b32_e32 v15, v4
	v_mov_b32_e32 v4, v10
	v_addc_co_u32_e64 v20, s[0:1], v48, v3, s[0:1]
	v_mad_u64_u32 v[4:5], s[0:1], s3, v5, v[4:5]
	v_add_u32_e32 v5, 0x271, v6
	v_lshlrev_b64 v[2:3], 2, v[14:15]
	v_mad_u64_u32 v[14:15], s[0:1], s2, v5, 0
	v_add_co_u32_e64 v21, s[0:1], v8, v2
	v_mov_b32_e32 v10, v4
	v_mov_b32_e32 v4, v15
	v_addc_co_u32_e64 v22, s[0:1], v48, v3, s[0:1]
	v_mad_u64_u32 v[4:5], s[0:1], s3, v5, v[4:5]
	v_add_u32_e32 v5, 0x2ee, v6
	v_lshlrev_b64 v[2:3], 2, v[9:10]
	v_mad_u64_u32 v[9:10], s[0:1], s2, v5, 0
	v_add_co_u32_e64 v23, s[0:1], v8, v2
	v_mov_b32_e32 v15, v4
	v_mov_b32_e32 v4, v10
	v_addc_co_u32_e64 v24, s[0:1], v48, v3, s[0:1]
	v_mad_u64_u32 v[4:5], s[0:1], s3, v5, v[4:5]
	v_add_u32_e32 v5, 0x36b, v6
	v_lshlrev_b64 v[2:3], 2, v[14:15]
	v_mad_u64_u32 v[14:15], s[0:1], s2, v5, 0
	v_add_co_u32_e64 v25, s[0:1], v8, v2
	v_mov_b32_e32 v10, v4
	v_mov_b32_e32 v4, v15
	v_addc_co_u32_e64 v26, s[0:1], v48, v3, s[0:1]
	v_mad_u64_u32 v[4:5], s[0:1], s3, v5, v[4:5]
	v_lshlrev_b64 v[2:3], 2, v[9:10]
	v_add_u32_e32 v33, 0x465, v6
	v_add_co_u32_e64 v10, s[0:1], v8, v2
	v_mov_b32_e32 v15, v4
	v_add_u32_e32 v4, 0x3e8, v6
	v_addc_co_u32_e64 v11, s[0:1], v48, v3, s[0:1]
	v_lshlrev_b64 v[2:3], 2, v[14:15]
	v_mad_u64_u32 v[27:28], s[0:1], s2, v4, 0
	v_add_co_u32_e64 v29, s[0:1], v8, v2
	v_addc_co_u32_e64 v30, s[0:1], v48, v3, s[0:1]
	v_mad_u64_u32 v[31:32], s[0:1], s2, v33, 0
	v_mov_b32_e32 v2, v28
	v_mad_u64_u32 v[14:15], s[0:1], s3, v4, v[2:3]
	global_load_dword v46, v[12:13], off
	global_load_dword v9, v[17:18], off
	;; [unrolled: 1-line block ×8, first 2 shown]
	v_mov_b32_e32 v12, v32
	v_mad_u64_u32 v[12:13], s[0:1], s3, v33, v[12:13]
	v_add_u32_e32 v19, 0x4e2, v6
	v_mov_b32_e32 v28, v14
	v_mad_u64_u32 v[13:14], s[0:1], s2, v19, 0
	v_lshlrev_b64 v[10:11], 2, v[27:28]
	v_mov_b32_e32 v32, v12
	v_add_co_u32_e64 v17, s[0:1], v8, v10
	v_mov_b32_e32 v12, v14
	v_addc_co_u32_e64 v18, s[0:1], v48, v11, s[0:1]
	v_mad_u64_u32 v[19:20], s[0:1], s3, v19, v[12:13]
	v_mad_u64_u32 v[20:21], s[0:1], s2, v7, 0
	v_lshlrev_b64 v[10:11], 2, v[31:32]
	v_mov_b32_e32 v14, v19
	v_add_co_u32_e64 v22, s[0:1], v8, v10
	v_mov_b32_e32 v12, v21
	v_addc_co_u32_e64 v23, s[0:1], v48, v11, s[0:1]
	v_lshlrev_b64 v[10:11], 2, v[13:14]
	v_mad_u64_u32 v[12:13], s[0:1], s3, v7, v[12:13]
	v_add_u32_e32 v19, 0xb4, v6
	v_mad_u64_u32 v[13:14], s[0:1], s2, v19, 0
	v_add_co_u32_e64 v24, s[0:1], v8, v10
	v_mov_b32_e32 v21, v12
	v_mov_b32_e32 v12, v14
	v_addc_co_u32_e64 v25, s[0:1], v48, v11, s[0:1]
	v_lshlrev_b64 v[10:11], 2, v[20:21]
	v_mad_u64_u32 v[19:20], s[0:1], s3, v19, v[12:13]
	v_add_u32_e32 v28, 0x131, v6
	v_mad_u64_u32 v[20:21], s[0:1], s2, v28, 0
	v_add_co_u32_e64 v26, s[0:1], v8, v10
	v_mov_b32_e32 v14, v19
	;; [unrolled: 8-line block ×4, first 2 shown]
	v_mov_b32_e32 v12, v21
	v_addc_co_u32_e64 v31, s[0:1], v48, v11, s[0:1]
	v_lshlrev_b64 v[10:11], 2, v[13:14]
	v_mad_u64_u32 v[12:13], s[0:1], s3, v32, v[12:13]
	v_add_co_u32_e64 v32, s[0:1], v8, v10
	v_mov_b32_e32 v21, v12
	v_add_u32_e32 v12, 0x2a8, v6
	v_addc_co_u32_e64 v33, s[0:1], v48, v11, s[0:1]
	v_lshlrev_b64 v[10:11], 2, v[20:21]
	v_mad_u64_u32 v[19:20], s[0:1], s2, v12, 0
	v_add_co_u32_e64 v34, s[0:1], v8, v10
	v_mov_b32_e32 v10, v20
	v_addc_co_u32_e64 v35, s[0:1], v48, v11, s[0:1]
	v_mad_u64_u32 v[11:12], s[0:1], s3, v12, v[10:11]
	global_load_dword v37, v[17:18], off
	global_load_dword v41, v[22:23], off
	;; [unrolled: 1-line block ×8, first 2 shown]
	v_add_u32_e32 v21, 0x325, v6
	v_mad_u64_u32 v[38:39], s[0:1], s2, v21, 0
	v_mov_b32_e32 v20, v11
	v_lshlrev_b64 v[17:18], 2, v[19:20]
	v_mov_b32_e32 v11, v39
	v_add_u32_e32 v24, 0x3a2, v6
	v_mov_b32_e32 v55, 0
                                        ; implicit-def: $vgpr44
                                        ; implicit-def: $vgpr40
                                        ; implicit-def: $vgpr45
                                        ; implicit-def: $vgpr36
                                        ; implicit-def: $vgpr43
	s_waitcnt vmcnt(0)
	v_mad_u64_u32 v[19:20], s[0:1], s3, v21, v[11:12]
	v_mad_u64_u32 v[20:21], s[0:1], s2, v24, 0
	v_add_co_u32_e64 v22, s[0:1], v8, v17
	v_mov_b32_e32 v11, v21
	v_addc_co_u32_e64 v23, s[0:1], v48, v18, s[0:1]
	v_mov_b32_e32 v39, v19
	v_mad_u64_u32 v[24:25], s[0:1], s3, v24, v[11:12]
	v_add_u32_e32 v19, 0x41f, v6
	v_mad_u64_u32 v[25:26], s[0:1], s2, v19, 0
	v_lshlrev_b64 v[17:18], 2, v[38:39]
	v_mov_b32_e32 v21, v24
	v_add_co_u32_e64 v30, s[0:1], v8, v17
	v_mov_b32_e32 v11, v26
	v_addc_co_u32_e64 v31, s[0:1], v48, v18, s[0:1]
	v_lshlrev_b64 v[17:18], 2, v[20:21]
	v_mad_u64_u32 v[19:20], s[0:1], s3, v19, v[11:12]
	v_add_u32_e32 v24, 0x49c, v6
	v_mad_u64_u32 v[20:21], s[0:1], s2, v24, 0
	v_add_co_u32_e64 v32, s[0:1], v8, v17
	v_mov_b32_e32 v26, v19
	v_mov_b32_e32 v11, v21
	v_addc_co_u32_e64 v33, s[0:1], v48, v18, s[0:1]
	v_lshlrev_b64 v[17:18], 2, v[25:26]
	v_mad_u64_u32 v[24:25], s[0:1], s3, v24, v[11:12]
	v_add_u32_e32 v19, 0x519, v6
	v_mad_u64_u32 v[25:26], s[0:1], s2, v19, 0
	v_add_co_u32_e64 v34, s[0:1], v8, v17
	v_mov_b32_e32 v21, v24
	v_mov_b32_e32 v11, v26
	v_addc_co_u32_e64 v35, s[0:1], v48, v18, s[0:1]
	v_lshlrev_b64 v[17:18], 2, v[20:21]
	v_mad_u64_u32 v[19:20], s[0:1], s3, v19, v[11:12]
	v_add_co_u32_e64 v20, s[0:1], v8, v17
	v_mov_b32_e32 v26, v19
	v_addc_co_u32_e64 v21, s[0:1], v48, v18, s[0:1]
	v_lshlrev_b64 v[17:18], 2, v[25:26]
	v_mov_b32_e32 v11, 0
	v_add_co_u32_e64 v38, s[0:1], v8, v17
	v_addc_co_u32_e64 v39, s[0:1], v48, v18, s[0:1]
	global_load_dword v17, v[22:23], off
	global_load_dword v24, v[30:31], off
	;; [unrolled: 1-line block ×6, first 2 shown]
	v_cmp_gt_u32_e64 s[0:1], 15, v6
                                        ; implicit-def: $vgpr19
                                        ; implicit-def: $vgpr32
                                        ; implicit-def: $vgpr21
                                        ; implicit-def: $vgpr35
                                        ; implicit-def: $vgpr31
                                        ; implicit-def: $vgpr38
                                        ; implicit-def: $vgpr34
                                        ; implicit-def: $vgpr18
                                        ; implicit-def: $vgpr30
                                        ; implicit-def: $vgpr20
                                        ; implicit-def: $vgpr33
                                        ; implicit-def: $vgpr22
                                        ; implicit-def: $vgpr23
                                        ; implicit-def: $vgpr39
                                        ; implicit-def: $vgpr25
	s_and_saveexec_b64 s[6:7], s[0:1]
	s_cbranch_execz .LBB0_14
; %bb.13:
	v_add_u32_e32 v22, 0x6e, v6
	v_mad_u64_u32 v[18:19], s[0:1], s2, v22, 0
	v_add_u32_e32 v25, 0xeb, v6
	v_mad_u64_u32 v[20:21], s[0:1], s2, v25, 0
	v_mov_b32_e32 v11, v19
	v_mad_u64_u32 v[22:23], s[0:1], s3, v22, v[11:12]
	v_mov_b32_e32 v11, v21
	v_add_u32_e32 v36, 0x4d3, v6
	v_mov_b32_e32 v19, v22
	v_mad_u64_u32 v[21:22], s[0:1], s3, v25, v[11:12]
	v_add_u32_e32 v25, 0x168, v6
	v_mad_u64_u32 v[22:23], s[0:1], s2, v25, 0
	v_lshlrev_b64 v[18:19], 2, v[18:19]
	v_add_co_u32_e64 v30, s[0:1], v8, v18
	v_mov_b32_e32 v11, v23
	v_addc_co_u32_e64 v31, s[0:1], v48, v19, s[0:1]
	v_lshlrev_b64 v[18:19], 2, v[20:21]
	v_mad_u64_u32 v[20:21], s[0:1], s3, v25, v[11:12]
	v_add_u32_e32 v21, 0x1e5, v6
	v_mad_u64_u32 v[32:33], s[0:1], s2, v21, 0
	v_add_co_u32_e64 v34, s[0:1], v8, v18
	v_mov_b32_e32 v23, v20
	v_mov_b32_e32 v11, v33
	v_addc_co_u32_e64 v35, s[0:1], v48, v19, s[0:1]
	v_lshlrev_b64 v[18:19], 2, v[22:23]
	v_mad_u64_u32 v[20:21], s[0:1], s3, v21, v[11:12]
	v_add_u32_e32 v23, 0x262, v6
	v_mad_u64_u32 v[21:22], s[0:1], s2, v23, 0
	v_add_co_u32_e64 v38, s[0:1], v8, v18
	v_mov_b32_e32 v33, v20
	v_add_u32_e32 v20, 0x2df, v6
	v_addc_co_u32_e64 v39, s[0:1], v48, v19, s[0:1]
	v_lshlrev_b64 v[18:19], 2, v[32:33]
	v_mov_b32_e32 v11, v22
	v_mad_u64_u32 v[32:33], s[0:1], s2, v20, 0
	v_mad_u64_u32 v[22:23], s[0:1], s3, v23, v[11:12]
	v_add_co_u32_e64 v43, s[0:1], v8, v18
	v_mov_b32_e32 v11, v33
	v_addc_co_u32_e64 v44, s[0:1], v48, v19, s[0:1]
	v_lshlrev_b64 v[18:19], 2, v[21:22]
	v_mad_u64_u32 v[20:21], s[0:1], s3, v20, v[11:12]
	v_add_u32_e32 v23, 0x35c, v6
	v_mad_u64_u32 v[21:22], s[0:1], s2, v23, 0
	v_add_co_u32_e64 v49, s[0:1], v8, v18
	v_mov_b32_e32 v33, v20
	v_add_u32_e32 v20, 0x3d9, v6
	v_addc_co_u32_e64 v50, s[0:1], v48, v19, s[0:1]
	v_lshlrev_b64 v[18:19], 2, v[32:33]
	v_mov_b32_e32 v11, v22
	v_mad_u64_u32 v[32:33], s[0:1], s2, v20, 0
	v_mad_u64_u32 v[22:23], s[0:1], s3, v23, v[11:12]
	v_add_co_u32_e64 v51, s[0:1], v8, v18
	v_mov_b32_e32 v11, v33
	v_addc_co_u32_e64 v52, s[0:1], v48, v19, s[0:1]
	v_lshlrev_b64 v[18:19], 2, v[21:22]
	v_mad_u64_u32 v[20:21], s[0:1], s3, v20, v[11:12]
	v_add_co_u32_e64 v53, s[0:1], v8, v18
	v_mov_b32_e32 v33, v20
	v_add_u32_e32 v20, 0x456, v6
	v_addc_co_u32_e64 v54, s[0:1], v48, v19, s[0:1]
	v_lshlrev_b64 v[18:19], 2, v[32:33]
	v_mad_u64_u32 v[32:33], s[0:1], s2, v20, 0
	v_add_co_u32_e64 v56, s[0:1], v8, v18
	v_mov_b32_e32 v11, v33
	v_addc_co_u32_e64 v57, s[0:1], v48, v19, s[0:1]
	v_mad_u64_u32 v[58:59], s[0:1], s3, v20, v[11:12]
	v_mad_u64_u32 v[59:60], s[0:1], s2, v36, 0
	v_mov_b32_e32 v33, v58
	global_load_dword v55, v[30:31], off
	global_load_dword v25, v[34:35], off
	;; [unrolled: 1-line block ×8, first 2 shown]
	v_mov_b32_e32 v11, v60
	v_lshlrev_b64 v[30:31], 2, v[32:33]
	v_mad_u64_u32 v[32:33], s[0:1], s3, v36, v[11:12]
	v_or_b32_e32 v38, 0x550, v6
	v_mad_u64_u32 v[33:34], s[0:1], s2, v38, 0
	v_add_co_u32_e64 v35, s[0:1], v8, v30
	v_mov_b32_e32 v11, v34
	v_addc_co_u32_e64 v36, s[0:1], v48, v31, s[0:1]
	v_mad_u64_u32 v[38:39], s[0:1], s3, v38, v[11:12]
	v_mov_b32_e32 v60, v32
	v_lshlrev_b64 v[30:31], 2, v[59:60]
	v_mov_b32_e32 v34, v38
	v_add_co_u32_e64 v43, s[0:1], v8, v30
	v_addc_co_u32_e64 v44, s[0:1], v48, v31, s[0:1]
	v_lshlrev_b64 v[30:31], 2, v[33:34]
	v_add_co_u32_e64 v32, s[0:1], v8, v30
	v_addc_co_u32_e64 v33, s[0:1], v48, v31, s[0:1]
	global_load_dword v31, v[35:36], off
	global_load_dword v34, v[43:44], off
	global_load_dword v40, v[32:33], off
	s_waitcnt vmcnt(10)
	v_lshrrev_b32_e32 v11, 16, v55
	s_waitcnt vmcnt(9)
	v_lshrrev_b32_e32 v43, 16, v25
	;; [unrolled: 2-line block ×11, first 2 shown]
.LBB0_14:
	s_or_b64 exec, exec, s[6:7]
	v_lshrrev_b32_e32 v49, 16, v46
	v_lshrrev_b32_e32 v62, 16, v9
	;; [unrolled: 1-line block ×16, first 2 shown]
	s_waitcnt vmcnt(5)
	v_lshrrev_b32_e32 v52, 16, v17
	s_waitcnt vmcnt(4)
	v_lshrrev_b32_e32 v56, 16, v24
	;; [unrolled: 2-line block ×6, first 2 shown]
	v_mov_b32_e32 v8, v7
.LBB0_15:
	s_or_b64 exec, exec, s[4:5]
	v_add_f16_e32 v76, v42, v9
	v_sub_f16_e32 v77, v62, v70
	v_mul_f16_e32 v71, 0xbbad, v76
	s_mov_b32 s46, 0xb482
	v_add_f16_e32 v78, v41, v5
	v_fma_f16 v72, v77, s46, v71
	v_sub_f16_e32 v79, v61, v69
	v_mul_f16_e32 v73, 0x3abb, v78
	s_movk_i32 s44, 0x3853
	v_add_f16_e32 v72, v72, v46
	v_fma_f16 v74, v79, s44, v73
	v_add_f16_e32 v80, v37, v4
	v_add_f16_e32 v72, v72, v74
	v_sub_f16_e32 v81, v60, v68
	v_mul_f16_e32 v74, 0xb93d, v80
	s_mov_b32 s49, 0xba0c
	v_fma_f16 v75, v81, s49, v74
	v_add_f16_e32 v82, v16, v3
	v_add_f16_e32 v72, v72, v75
	v_sub_f16_e32 v83, v58, v67
	v_mul_f16_e32 v75, 0x36a6, v82
	s_movk_i32 s48, 0x3b47
	v_fma_f16 v84, v83, s48, v75
	v_add_f16_e32 v72, v72, v84
	v_add_f16_e32 v84, v15, v2
	v_sub_f16_e32 v85, v57, v66
	v_mul_f16_e32 v86, 0xb08e, v84
	s_mov_b32 s51, 0xbbeb
	v_fma_f16 v87, v85, s51, v86
	v_add_f16_e32 v72, v72, v87
	v_add_f16_e32 v87, v29, v10
	v_sub_f16_e32 v88, v51, v65
	v_mul_f16_e32 v89, 0xbbad, v87
	v_add_f16_e32 v91, v28, v14
	v_fma_f16 v90, v88, s46, v89
	v_sub_f16_e32 v92, v50, v64
	v_mul_f16_e32 v93, 0x3abb, v91
	v_add_f16_e32 v90, v90, v47
	v_fma_f16 v94, v92, s44, v93
	s_mov_b32 s7, 0x36a63abb
	v_add_f16_e32 v90, v90, v94
	v_pk_mul_f16 v94, v76, s7 op_sel_hi:[0,1]
	s_mov_b32 s14, 0xbb47b853
	s_mov_b32 s10, 0xb93d36a6
	v_pk_fma_f16 v95, v77, s14, v94 op_sel_hi:[0,1,1]
	v_pk_mul_f16 v96, v78, s10 op_sel_hi:[0,1]
	s_mov_b32 s15, 0xba0cbb47
	v_pk_add_f16 v95, v95, v46 op_sel_hi:[1,0]
	v_pk_fma_f16 v97, v79, s15, v96 op_sel_hi:[0,1,1]
	s_mov_b32 s11, 0xbbadb08e
	v_pk_add_f16 v95, v95, v97
	v_pk_mul_f16 v97, v80, s11 op_sel_hi:[0,1]
	s_mov_b32 s17, 0x3482bbeb
	v_pk_fma_f16 v98, v81, s17, v97 op_sel_hi:[0,1,1]
	s_mov_b32 s16, 0xb08eb93d
	v_pk_add_f16 v95, v95, v98
	v_pk_mul_f16 v98, v82, s16 op_sel_hi:[0,1]
	s_mov_b32 s19, 0x3bebba0c
	;; [unrolled: 5-line block ×3, first 2 shown]
	v_pk_fma_f16 v100, v85, s21, v99 op_sel_hi:[0,1,1]
	s_mov_b32 s20, 0xb93db08e
	v_pk_add_f16 v95, v95, v100
	s_mov_b32 s22, 0xba0cbbeb
	v_pk_mul_f16 v100, v76, s20 op_sel_hi:[0,1]
	s_mov_b32 s23, 0xb08ebbad
	v_pk_fma_f16 v101, v77, s22, v100 op_sel_hi:[0,1,1]
	s_mov_b32 s24, 0x3beb3482
	v_pk_mul_f16 v102, v78, s23 op_sel_hi:[0,1]
	v_pk_add_f16 v101, v101, v46 op_sel_hi:[1,0]
	v_pk_fma_f16 v103, v79, s24, v102 op_sel_hi:[0,1,1]
	s_mov_b32 s25, 0x3abb36a6
	v_pk_add_f16 v101, v101, v103
	s_mov_b32 s26, 0xb8533b47
	v_pk_mul_f16 v103, v80, s25 op_sel_hi:[0,1]
	v_pk_fma_f16 v104, v81, s26, v103 op_sel_hi:[0,1,1]
	s_mov_b32 s27, 0xbbad3abb
	v_pk_add_f16 v101, v101, v104
	s_mov_b32 s28, 0xb482b853
	v_pk_mul_f16 v104, v82, s27 op_sel_hi:[0,1]
	;; [unrolled: 5-line block ×3, first 2 shown]
	v_pk_fma_f16 v106, v85, s30, v105 op_sel_hi:[0,1,1]
	s_mov_b32 s6, 0xffff
	v_pk_add_f16 v101, v101, v106
	v_bfi_b32 v71, s6, v71, v100
	v_mul_f16_e32 v100, 0xb482, v77
	v_pk_mul_f16 v106, v77, s22 op_sel_hi:[0,1]
	v_bfi_b32 v100, s6, v100, v106
	v_pk_add_f16 v71, v71, v100 neg_lo:[0,1] neg_hi:[0,1]
	v_bfi_b32 v73, s6, v73, v102
	v_mul_f16_e32 v100, 0x3853, v79
	v_pk_mul_f16 v102, v79, s24 op_sel_hi:[0,1]
	v_bfi_b32 v100, s6, v100, v102
	v_pk_add_f16 v73, v73, v100 neg_lo:[0,1] neg_hi:[0,1]
	v_pk_add_f16 v71, v71, v46 op_sel_hi:[1,0]
	v_pk_add_f16 v71, v71, v73
	v_bfi_b32 v73, s6, v74, v103
	v_mul_f16_e32 v74, 0xba0c, v81
	v_pk_mul_f16 v100, v81, s26 op_sel_hi:[0,1]
	v_bfi_b32 v74, s6, v74, v100
	v_pk_add_f16 v73, v73, v74 neg_lo:[0,1] neg_hi:[0,1]
	v_pk_add_f16 v71, v71, v73
	v_bfi_b32 v73, s6, v75, v104
	v_mul_f16_e32 v74, 0x3b47, v83
	v_pk_mul_f16 v75, v83, s28 op_sel_hi:[0,1]
	v_bfi_b32 v74, s6, v74, v75
	v_pk_add_f16 v73, v73, v74 neg_lo:[0,1] neg_hi:[0,1]
	v_pk_add_f16 v71, v71, v73
	v_mul_f16_e32 v73, 0xbbeb, v85
	v_pk_mul_f16 v75, v85, s30 op_sel_hi:[0,1]
	v_bfi_b32 v74, s6, v86, v105
	v_bfi_b32 v73, s6, v73, v75
	v_pk_add_f16 v73, v74, v73 neg_lo:[0,1] neg_hi:[0,1]
	v_pk_add_f16 v75, v71, v73
	v_add_f16_e32 v71, v46, v9
	s_mov_b32 s34, 0xbb47bbeb
	v_add_f16_e32 v71, v71, v5
	v_fma_f16 v94, v77, s44, v94
	s_mov_b32 s33, 0x36a6b08e
	v_pk_mul_f16 v77, v77, s34 op_sel_hi:[0,1]
	s_mov_b32 s36, 0xba0c3482
	v_add_f16_e32 v71, v71, v4
	v_fma_f16 v96, v79, s48, v96
	v_pk_fma_f16 v76, v76, s33, v77 op_sel_hi:[0,1,1] neg_lo:[0,0,1] neg_hi:[0,0,1]
	s_mov_b32 s35, 0xb93dbbad
	v_pk_mul_f16 v79, v79, s36 op_sel_hi:[0,1]
	v_add_f16_e32 v71, v71, v3
	v_add_f16_e32 v94, v94, v46
	v_pk_add_f16 v46, v76, v46 op_sel_hi:[1,0]
	v_pk_fma_f16 v78, v78, s35, v79 op_sel_hi:[0,1,1] neg_lo:[0,0,1] neg_hi:[0,0,1]
	s_mov_b32 s38, 0x34823b47
	v_add_f16_e32 v71, v71, v2
	v_pk_add_f16 v46, v46, v78
	s_mov_b32 s37, 0xbbad36a6
	v_pk_mul_f16 v78, v81, s38 op_sel_hi:[0,1]
	v_add_f16_e32 v71, v71, v15
	v_pk_fma_f16 v78, v80, s37, v78 op_sel_hi:[0,1,1] neg_lo:[0,0,1] neg_hi:[0,0,1]
	s_mov_b32 s40, 0x3bebb853
	v_add_f16_e32 v71, v16, v71
	v_pk_add_f16 v46, v46, v78
	s_mov_b32 s39, 0xb08e3abb
	v_pk_mul_f16 v78, v83, s40 op_sel_hi:[0,1]
	v_add_f16_e32 v71, v37, v71
	s_movk_i32 s52, 0x3beb
	v_pk_fma_f16 v78, v82, s39, v78 op_sel_hi:[0,1,1] neg_lo:[0,0,1] neg_hi:[0,0,1]
	s_mov_b32 s42, 0x3853ba0c
	v_add_f16_e32 v71, v41, v71
	v_add_f16_e32 v94, v94, v96
	v_fma_f16 v96, v81, s52, v97
	s_movk_i32 s53, 0x3a0c
	v_pk_add_f16 v46, v46, v78
	s_mov_b32 s41, 0x3abbb93d
	v_pk_mul_f16 v78, v85, s42 op_sel_hi:[0,1]
	v_add_f16_e32 v71, v42, v71
	v_add_f16_e32 v94, v94, v96
	v_fma_f16 v96, v83, s53, v98
	s_movk_i32 s54, 0x3482
	v_pk_fma_f16 v78, v84, s41, v78 op_sel_hi:[0,1,1] neg_lo:[0,0,1] neg_hi:[0,0,1]
	v_alignbit_b32 v74, v72, v101, 16
	v_alignbit_b32 v73, v101, v95, 16
	v_pack_b32_f16 v72, v71, v95
	v_mad_u32_u24 v71, v6, 22, 0
	v_add_f16_e32 v94, v94, v96
	v_fma_f16 v96, v85, s54, v99
	v_pk_add_f16 v46, v46, v78
	ds_write_b128 v71, v[72:75]
	v_add_f16_e32 v94, v94, v96
	ds_write_b32 v71, v46 offset:16
	ds_write_b16 v71, v94 offset:20
	v_pk_mul_f16 v46, v87, s7 op_sel_hi:[0,1]
	v_add_f16_e32 v86, v27, v13
	v_fma_f16 v78, v88, s44, v46
	v_pk_fma_f16 v46, v88, s14, v46 op_sel_hi:[0,1,1]
	v_pk_mul_f16 v80, v91, s10 op_sel_hi:[0,1]
	v_sub_f16_e32 v95, v54, v63
	v_mul_f16_e32 v72, 0xb93d, v86
	v_pk_add_f16 v46, v46, v47 op_sel_hi:[1,0]
	v_fma_f16 v81, v92, s48, v80
	v_pk_fma_f16 v80, v92, s15, v80 op_sel_hi:[0,1,1]
	v_fma_f16 v73, v95, s49, v72
	v_add_f16_e32 v78, v78, v47
	v_pk_add_f16 v46, v46, v80
	v_pk_mul_f16 v80, v86, s11 op_sel_hi:[0,1]
	v_add_f16_e32 v73, v90, v73
	v_add_f16_e32 v90, v26, v12
	;; [unrolled: 1-line block ×3, first 2 shown]
	v_fma_f16 v81, v95, s52, v80
	v_pk_fma_f16 v80, v95, s17, v80 op_sel_hi:[0,1,1]
	v_sub_f16_e32 v100, v53, v59
	v_pk_add_f16 v46, v46, v80
	v_pk_mul_f16 v80, v90, s16 op_sel_hi:[0,1]
	v_add_f16_e32 v101, v24, v17
	v_add_f16_e32 v78, v78, v81
	v_fma_f16 v81, v100, s53, v80
	v_pk_fma_f16 v80, v100, s19, v80 op_sel_hi:[0,1,1]
	v_sub_f16_e32 v102, v52, v56
	v_pk_add_f16 v46, v46, v80
	v_pk_mul_f16 v80, v101, s18 op_sel_hi:[0,1]
	v_add_f16_e32 v78, v78, v81
	v_fma_f16 v81, v102, s54, v80
	v_pk_fma_f16 v80, v102, s21, v80 op_sel_hi:[0,1,1]
	v_pk_add_f16 v80, v46, v80
	v_pk_mul_f16 v46, v87, s20 op_sel_hi:[0,1]
	v_add_f16_e32 v78, v78, v81
	v_pk_fma_f16 v81, v88, s22, v46 op_sel_hi:[0,1,1]
	v_pk_mul_f16 v82, v91, s23 op_sel_hi:[0,1]
	v_pk_add_f16 v81, v81, v47 op_sel_hi:[1,0]
	v_pk_fma_f16 v83, v92, s24, v82 op_sel_hi:[0,1,1]
	v_pk_add_f16 v81, v81, v83
	v_pk_mul_f16 v83, v86, s25 op_sel_hi:[0,1]
	v_add_f16_e32 v96, v47, v10
	v_pk_fma_f16 v84, v95, s26, v83 op_sel_hi:[0,1,1]
	v_add_f16_e32 v96, v96, v14
	v_mul_f16_e32 v77, 0xb482, v88
	v_pk_add_f16 v81, v81, v84
	v_pk_mul_f16 v84, v90, s27 op_sel_hi:[0,1]
	v_bfi_b32 v46, s6, v89, v46
	v_pk_mul_f16 v89, v88, s22 op_sel_hi:[0,1]
	v_add_f16_e32 v96, v96, v13
	v_mul_f16_e32 v76, 0x3853, v92
	v_pk_fma_f16 v85, v100, s28, v84 op_sel_hi:[0,1,1]
	v_bfi_b32 v77, s6, v77, v89
	v_bfi_b32 v82, s6, v93, v82
	v_pk_mul_f16 v93, v92, s24 op_sel_hi:[0,1]
	v_add_f16_e32 v96, v96, v12
	v_mul_f16_e32 v79, 0xba0c, v95
	v_pk_add_f16 v81, v81, v85
	v_pk_mul_f16 v85, v101, s29 op_sel_hi:[0,1]
	v_pk_add_f16 v77, v46, v77 neg_lo:[0,1] neg_hi:[0,1]
	v_bfi_b32 v76, s6, v76, v93
	v_pk_mul_f16 v93, v95, s26 op_sel_hi:[0,1]
	v_add_f16_e32 v96, v96, v17
	v_pk_fma_f16 v94, v102, s30, v85 op_sel_hi:[0,1,1]
	v_pk_add_f16 v76, v82, v76 neg_lo:[0,1] neg_hi:[0,1]
	v_pk_add_f16 v77, v77, v47 op_sel_hi:[1,0]
	v_bfi_b32 v72, s6, v72, v83
	v_bfi_b32 v79, s6, v79, v93
	v_mul_f16_e32 v74, 0x36a6, v90
	v_add_f16_e32 v96, v96, v24
	v_pk_add_f16 v81, v81, v94
	v_mul_f16_e32 v94, 0x3b47, v100
	v_pk_mul_f16 v82, v100, s28 op_sel_hi:[0,1]
	v_pk_add_f16 v76, v77, v76
	v_pk_add_f16 v72, v72, v79 neg_lo:[0,1] neg_hi:[0,1]
	v_fma_f16 v75, v100, s48, v74
	v_add_f16_e32 v96, v26, v96
	v_pk_add_f16 v72, v76, v72
	v_bfi_b32 v74, s6, v74, v84
	v_bfi_b32 v76, s6, v94, v82
	v_add_f16_e32 v73, v73, v75
	v_mul_f16_e32 v75, 0xb08e, v101
	v_add_f16_e32 v96, v27, v96
	v_mul_f16_e32 v89, 0xbbeb, v102
	v_pk_mul_f16 v77, v102, s30 op_sel_hi:[0,1]
	v_pk_add_f16 v74, v74, v76 neg_lo:[0,1] neg_hi:[0,1]
	v_fma_f16 v103, v102, s51, v75
	v_add_f16_e32 v96, v28, v96
	v_pk_add_f16 v72, v72, v74
	v_bfi_b32 v74, s6, v75, v85
	v_bfi_b32 v75, s6, v89, v77
	v_add_f16_e32 v73, v73, v103
	v_add_f16_e32 v96, v29, v96
	v_pk_add_f16 v74, v74, v75 neg_lo:[0,1] neg_hi:[0,1]
	v_mad_i32_i24 v46, v8, 22, 0
	v_pk_add_f16 v75, v72, v74
	v_alignbit_b32 v74, v73, v81, 16
	v_alignbit_b32 v73, v81, v80, 16
	v_pack_b32_f16 v72, v96, v80
	ds_write_b128 v46, v[72:75]
	v_pk_mul_f16 v72, v88, s34 op_sel_hi:[0,1]
	v_pk_fma_f16 v72, v87, s33, v72 op_sel_hi:[0,1,1] neg_lo:[0,0,1] neg_hi:[0,0,1]
	v_pk_add_f16 v47, v72, v47 op_sel_hi:[1,0]
	v_pk_mul_f16 v72, v92, s36 op_sel_hi:[0,1]
	v_pk_fma_f16 v72, v91, s35, v72 op_sel_hi:[0,1,1] neg_lo:[0,0,1] neg_hi:[0,0,1]
	v_pk_add_f16 v47, v47, v72
	v_pk_mul_f16 v72, v95, s38 op_sel_hi:[0,1]
	v_pk_fma_f16 v72, v86, s37, v72 op_sel_hi:[0,1,1] neg_lo:[0,0,1] neg_hi:[0,0,1]
	v_pk_add_f16 v47, v47, v72
	;; [unrolled: 3-line block ×3, first 2 shown]
	v_pk_mul_f16 v72, v102, s42 op_sel_hi:[0,1]
	v_pk_fma_f16 v72, v101, s41, v72 op_sel_hi:[0,1,1] neg_lo:[0,0,1] neg_hi:[0,0,1]
	s_mov_b32 s50, 0xbbad
	s_movk_i32 s47, 0x3abb
	s_mov_b32 s43, 0xb93d
	s_movk_i32 s45, 0x36a6
	s_mov_b32 s31, 0xb08e
	v_pk_add_f16 v47, v47, v72
	v_cmp_gt_u32_e64 s[0:1], 15, v6
	ds_write_b32 v46, v47 offset:16
	ds_write_b16 v46, v78 offset:20
	s_and_saveexec_b64 s[4:5], s[0:1]
	s_cbranch_execz .LBB0_17
; %bb.16:
	v_add_f16_e32 v76, v25, v40
	v_mul_f16_e32 v72, 0xbbad, v76
	v_sub_f16_e32 v77, v43, v45
	v_add_f16_e32 v78, v23, v34
	v_mul_f16_e32 v74, 0x3abb, v78
	v_sub_f16_e32 v79, v39, v44
	v_add_f16_e32 v80, v22, v31
	v_fma_f16 v92, v77, s46, v72
	v_mul_f16_e32 v81, 0xb93d, v80
	v_sub_f16_e32 v82, v36, v38
	v_add_f16_e32 v84, v20, v21
	v_add_f16_e32 v92, v55, v92
	v_fma_f16 v93, v79, s44, v74
	v_mul_f16_e32 v85, 0x36a6, v84
	v_sub_f16_e32 v86, v33, v35
	v_add_f16_e32 v88, v18, v19
	;; [unrolled: 5-line block ×3, first 2 shown]
	v_fma_f16 v93, v86, s48, v85
	v_add_f16_e32 v92, v92, v93
	v_fma_f16 v93, v90, s51, v89
	v_add_f16_e32 v92, v92, v93
	v_pk_mul_f16 v93, v76, s7 op_sel_hi:[0,1]
	v_pk_mul_f16 v94, v78, s10 op_sel_hi:[0,1]
	v_fma_f16 v98, v77, s44, v93
	v_pk_fma_f16 v93, v77, s14, v93 op_sel_hi:[0,1,1]
	v_pk_mul_f16 v95, v80, s11 op_sel_hi:[0,1]
	v_fma_f16 v99, v79, s48, v94
	v_pk_add_f16 v93, v55, v93 op_sel_hi:[0,1]
	v_pk_fma_f16 v94, v79, s15, v94 op_sel_hi:[0,1,1]
	v_pk_mul_f16 v96, v84, s16 op_sel_hi:[0,1]
	v_pk_add_f16 v93, v93, v94
	v_pk_fma_f16 v94, v82, s17, v95 op_sel_hi:[0,1,1]
	v_pk_mul_f16 v97, v88, s18 op_sel_hi:[0,1]
	v_add_f16_e32 v98, v55, v98
	v_pk_add_f16 v93, v93, v94
	v_pk_fma_f16 v94, v86, s19, v96 op_sel_hi:[0,1,1]
	v_add_f16_e32 v98, v98, v99
	v_fma_f16 v99, v82, s52, v95
	v_pk_add_f16 v93, v93, v94
	v_pk_fma_f16 v94, v90, s21, v97 op_sel_hi:[0,1,1]
	v_add_f16_e32 v47, v55, v25
	v_mul_f16_e32 v73, 0xb482, v77
	v_add_f16_e32 v98, v98, v99
	v_fma_f16 v99, v86, s53, v96
	v_pk_add_f16 v93, v93, v94
	v_pk_mul_f16 v94, v76, s20 op_sel_hi:[0,1]
	v_pk_mul_f16 v95, v77, s22 op_sel_hi:[0,1]
	v_add_f16_e32 v47, v47, v23
	v_mul_f16_e32 v75, 0x3853, v79
	v_add_f16_e32 v98, v98, v99
	v_fma_f16 v99, v90, s54, v97
	v_pk_mul_f16 v96, v78, s23 op_sel_hi:[0,1]
	v_pk_mul_f16 v97, v79, s24 op_sel_hi:[0,1]
	v_bfi_b32 v72, s6, v72, v94
	v_bfi_b32 v73, s6, v73, v95
	v_add_f16_e32 v47, v47, v22
	v_pk_add_f16 v72, v72, v73 neg_lo:[0,1] neg_hi:[0,1]
	v_bfi_b32 v73, s6, v74, v96
	v_bfi_b32 v74, s6, v75, v97
	v_add_f16_e32 v47, v47, v20
	v_mul_f16_e32 v83, 0xba0c, v82
	v_add_f16_e32 v98, v98, v99
	v_pk_mul_f16 v99, v80, s25 op_sel_hi:[0,1]
	v_pk_mul_f16 v100, v82, s26 op_sel_hi:[0,1]
	v_pk_add_f16 v72, v55, v72 op_sel_hi:[0,1]
	v_pk_add_f16 v73, v73, v74 neg_lo:[0,1] neg_hi:[0,1]
	v_add_f16_e32 v47, v47, v18
	v_pk_add_f16 v72, v72, v73
	v_bfi_b32 v73, s6, v81, v99
	v_bfi_b32 v74, s6, v83, v100
	v_add_f16_e32 v47, v47, v19
	v_mul_f16_e32 v87, 0x3b47, v86
	v_pk_mul_f16 v101, v84, s27 op_sel_hi:[0,1]
	v_pk_mul_f16 v102, v86, s28 op_sel_hi:[0,1]
	v_pk_add_f16 v73, v73, v74 neg_lo:[0,1] neg_hi:[0,1]
	v_add_f16_e32 v47, v21, v47
	v_pk_add_f16 v72, v72, v73
	v_bfi_b32 v73, s6, v85, v101
	v_bfi_b32 v74, s6, v87, v102
	v_add_f16_e32 v47, v31, v47
	v_mul_f16_e32 v91, 0xbbeb, v90
	v_pk_mul_f16 v103, v88, s29 op_sel_hi:[0,1]
	v_pk_mul_f16 v104, v90, s30 op_sel_hi:[0,1]
	v_pk_add_f16 v73, v73, v74 neg_lo:[0,1] neg_hi:[0,1]
	v_add_f16_e32 v47, v34, v47
	v_pk_add_f16 v72, v72, v73
	v_bfi_b32 v73, s6, v89, v103
	v_bfi_b32 v74, s6, v91, v104
	v_add_f16_e32 v47, v40, v47
	v_pk_add_f16 v73, v73, v74 neg_lo:[0,1] neg_hi:[0,1]
	s_mov_b32 s44, 0x3b473beb
	v_pk_add_f16 v75, v72, v73
	v_pack_b32_f16 v72, v47, v93
	v_pk_mul_f16 v47, v77, s44 op_sel_hi:[0,1]
	v_pk_fma_f16 v105, v77, s22, v94 op_sel_hi:[0,1,1]
	v_pk_fma_f16 v47, v76, s33, v47 op_sel_hi:[0,1,1]
	s_mov_b32 s44, 0x3a0cb482
	v_pk_add_f16 v105, v55, v105 op_sel_hi:[0,1]
	v_pk_add_f16 v47, v55, v47 op_sel_hi:[0,1]
	v_pk_mul_f16 v55, v79, s44 op_sel_hi:[0,1]
	v_pk_fma_f16 v55, v78, s35, v55 op_sel_hi:[0,1,1]
	s_mov_b32 s44, 0xb482bb47
	v_pk_add_f16 v47, v47, v55
	v_pk_mul_f16 v55, v82, s44 op_sel_hi:[0,1]
	v_pk_fma_f16 v106, v79, s24, v96 op_sel_hi:[0,1,1]
	v_pk_fma_f16 v55, v80, s37, v55 op_sel_hi:[0,1,1]
	s_mov_b32 s44, 0xbbeb3853
	v_pk_add_f16 v105, v105, v106
	v_pk_fma_f16 v106, v82, s26, v99 op_sel_hi:[0,1,1]
	v_pk_add_f16 v47, v47, v55
	v_pk_mul_f16 v55, v86, s44 op_sel_hi:[0,1]
	v_pk_add_f16 v105, v105, v106
	v_pk_fma_f16 v106, v86, s28, v101 op_sel_hi:[0,1,1]
	v_pk_fma_f16 v55, v84, s39, v55 op_sel_hi:[0,1,1]
	s_mov_b32 s44, 0xb8533a0c
	v_pk_add_f16 v105, v105, v106
	v_pk_fma_f16 v106, v90, s30, v103 op_sel_hi:[0,1,1]
	v_pk_add_f16 v47, v47, v55
	v_pk_mul_f16 v55, v90, s44 op_sel_hi:[0,1]
	v_pk_add_f16 v105, v105, v106
	v_pk_fma_f16 v55, v88, s41, v55 op_sel_hi:[0,1,1]
	v_alignbit_b32 v74, v92, v105, 16
	v_alignbit_b32 v73, v105, v93, 16
	v_pk_add_f16 v47, v47, v55
	ds_write_b128 v71, v[72:75] offset:2420
	ds_write_b32 v71, v47 offset:2436
	ds_write_b16 v71, v98 offset:2440
.LBB0_17:
	s_or_b64 exec, exec, s[4:5]
	v_add_f16_e32 v47, v49, v62
	v_add_f16_e32 v47, v47, v61
	v_add_f16_e32 v47, v47, v60
	v_add_f16_e32 v47, v47, v58
	v_add_f16_e32 v47, v47, v57
	v_add_f16_e32 v47, v47, v66
	v_add_f16_e32 v47, v67, v47
	v_add_f16_e32 v47, v68, v47
	v_add_f16_e32 v47, v69, v47
	v_sub_f16_e32 v9, v9, v42
	v_add_f16_e32 v72, v70, v47
	v_add_f16_e32 v47, v70, v62
	v_mul_f16_e32 v55, 0xb482, v9
	v_sub_f16_e32 v5, v5, v41
	v_fma_f16 v62, v47, s50, -v55
	v_add_f16_e32 v61, v69, v61
	v_mul_f16_e32 v69, 0x3853, v5
	v_sub_f16_e32 v4, v4, v37
	v_add_f16_e32 v62, v62, v49
	v_fma_f16 v70, v61, s47, -v69
	v_add_f16_e32 v60, v68, v60
	v_mul_f16_e32 v68, 0xba0c, v4
	v_sub_f16_e32 v3, v3, v16
	v_add_f16_e32 v62, v62, v70
	v_fma_f16 v70, v60, s43, -v68
	v_add_f16_e32 v58, v67, v58
	v_mul_f16_e32 v67, 0x3b47, v3
	v_add_f16_e32 v62, v62, v70
	v_fma_f16 v70, v58, s45, -v67
	v_sub_f16_e32 v2, v2, v15
	v_pk_mul_f16 v15, v9, s14 op_sel_hi:[0,1]
	v_add_f16_e32 v62, v62, v70
	v_add_f16_e32 v57, v66, v57
	v_fma_f16 v66, v47, s47, v15
	v_pk_fma_f16 v15, v47, s7, v15 op_sel_hi:[0,1,1] neg_lo:[0,0,1] neg_hi:[0,0,1]
	v_pk_mul_f16 v70, v5, s15 op_sel_hi:[0,1]
	v_pk_add_f16 v15, v15, v49 op_sel_hi:[1,0]
	v_fma_f16 v73, v61, s45, v70
	v_pk_fma_f16 v70, v61, s10, v70 op_sel_hi:[0,1,1] neg_lo:[0,0,1] neg_hi:[0,0,1]
	v_add_f16_e32 v66, v66, v49
	v_pk_add_f16 v15, v15, v70
	v_pk_mul_f16 v70, v4, s17 op_sel_hi:[0,1]
	v_add_f16_e32 v66, v66, v73
	v_fma_f16 v73, v60, s31, v70
	v_pk_fma_f16 v70, v60, s11, v70 op_sel_hi:[0,1,1] neg_lo:[0,0,1] neg_hi:[0,0,1]
	v_pk_add_f16 v15, v15, v70
	v_pk_mul_f16 v70, v3, s19 op_sel_hi:[0,1]
	v_add_f16_e32 v66, v66, v73
	v_fma_f16 v73, v58, s43, v70
	v_pk_fma_f16 v70, v58, s16, v70 op_sel_hi:[0,1,1] neg_lo:[0,0,1] neg_hi:[0,0,1]
	v_add_f16_e32 v66, v66, v73
	v_pk_add_f16 v15, v15, v70
	v_pk_mul_f16 v70, v57, s18 op_sel_hi:[0,1]
	v_pk_mul_f16 v73, v2, s21 op_sel_hi:[0,1]
	v_pk_fma_f16 v74, v57, s18, v73 op_sel_hi:[0,1,1] neg_lo:[0,0,1] neg_hi:[0,0,1]
	v_add_f16_e32 v70, v70, v73
	v_pk_mul_f16 v73, v9, s22 op_sel_hi:[0,1]
	v_pk_mul_f16 v9, v9, s34 op_sel_hi:[0,1]
	;; [unrolled: 1-line block ×3, first 2 shown]
	v_pk_fma_f16 v9, v47, s33, v9 op_sel_hi:[0,1,1]
	v_pk_mul_f16 v5, v5, s36 op_sel_hi:[0,1]
	v_pk_mul_f16 v78, v4, s26 op_sel_hi:[0,1]
	v_pk_add_f16 v9, v9, v49 op_sel_hi:[1,0]
	v_pk_fma_f16 v5, v61, s35, v5 op_sel_hi:[0,1,1]
	v_pk_mul_f16 v4, v4, s38 op_sel_hi:[0,1]
	v_pk_mul_f16 v80, v3, s28 op_sel_hi:[0,1]
	v_pk_add_f16 v5, v9, v5
	v_pk_fma_f16 v4, v60, s37, v4 op_sel_hi:[0,1,1]
	v_pk_mul_f16 v3, v3, s40 op_sel_hi:[0,1]
	v_add_f16_e32 v66, v66, v70
	v_pk_add_f16 v70, v15, v74
	v_pk_fma_f16 v74, v47, s20, v73 op_sel_hi:[0,1,1] neg_lo:[0,0,1] neg_hi:[0,0,1]
	v_pk_add_f16 v4, v5, v4
	v_pk_fma_f16 v3, v58, s39, v3 op_sel_hi:[0,1,1]
	v_pk_add_f16 v74, v74, v49 op_sel_hi:[1,0]
	v_pk_fma_f16 v77, v61, s23, v76 op_sel_hi:[0,1,1] neg_lo:[0,0,1] neg_hi:[0,0,1]
	v_pk_add_f16 v3, v4, v3
	v_pk_mul_f16 v4, v2, s42 op_sel_hi:[0,1]
	v_pk_add_f16 v74, v74, v77
	v_pk_fma_f16 v79, v60, s25, v78 op_sel_hi:[0,1,1] neg_lo:[0,0,1] neg_hi:[0,0,1]
	v_pk_mul_f16 v82, v2, s30 op_sel_hi:[0,1]
	v_pk_fma_f16 v4, v57, s41, v4 op_sel_hi:[0,1,1]
	v_mul_f16_e32 v2, 0xbbeb, v2
	v_mul_f16_e32 v42, 0xbbad, v47
	v_pk_mul_f16 v15, v47, s20 op_sel_hi:[0,1]
	v_pk_add_f16 v74, v74, v79
	v_pk_fma_f16 v81, v58, s27, v80 op_sel_hi:[0,1,1] neg_lo:[0,0,1] neg_hi:[0,0,1]
	v_pk_add_f16 v84, v3, v4
	v_fma_f16 v4, v57, s31, -v2
	v_mul_f16_e32 v41, 0x3abb, v61
	v_pk_mul_f16 v75, v61, s23 op_sel_hi:[0,1]
	v_pk_add_f16 v74, v74, v81
	v_pk_mul_f16 v81, v57, s29 op_sel_hi:[0,1]
	v_pk_fma_f16 v83, v57, s29, v82 op_sel_hi:[0,1,1] neg_lo:[0,0,1] neg_hi:[0,0,1]
	v_mul_f16_e32 v3, 0xb08e, v57
	v_add_f16_e32 v57, v62, v4
	v_bfi_b32 v4, s6, v42, v15
	v_bfi_b32 v5, s6, v55, v73
	v_pk_add_f16 v4, v4, v5
	v_bfi_b32 v5, s6, v41, v75
	v_bfi_b32 v9, s6, v69, v76
	v_mul_f16_e32 v37, 0xb93d, v60
	v_pk_mul_f16 v77, v60, s25 op_sel_hi:[0,1]
	v_pk_add_f16 v4, v4, v49 op_sel_hi:[1,0]
	v_pk_add_f16 v5, v5, v9
	v_pk_add_f16 v4, v4, v5
	v_bfi_b32 v5, s6, v37, v77
	v_bfi_b32 v9, s6, v68, v78
	v_mul_f16_e32 v16, 0x36a6, v58
	v_pk_mul_f16 v79, v58, s27 op_sel_hi:[0,1]
	v_pk_add_f16 v5, v5, v9
	v_pk_add_f16 v4, v4, v5
	v_bfi_b32 v5, s6, v16, v79
	v_bfi_b32 v9, s6, v67, v80
	v_pk_add_f16 v5, v5, v9
	v_bfi_b32 v3, s6, v3, v81
	v_bfi_b32 v2, s6, v2, v82
	v_pk_add_f16 v4, v4, v5
	v_pk_add_f16 v2, v3, v2
	;; [unrolled: 1-line block ×3, first 2 shown]
	v_add_f16_e32 v2, v48, v51
	v_add_f16_e32 v2, v2, v50
	;; [unrolled: 1-line block ×9, first 2 shown]
	v_sub_f16_e32 v3, v10, v29
	v_add_f16_e32 v62, v65, v2
	v_add_f16_e32 v2, v65, v51
	v_mul_f16_e32 v5, 0xb482, v3
	v_sub_f16_e32 v14, v14, v28
	v_fma_f16 v9, v2, s50, -v5
	v_add_f16_e32 v10, v64, v50
	v_mul_f16_e32 v16, 0x3853, v14
	v_sub_f16_e32 v17, v17, v24
	v_pk_mul_f16 v24, v3, s14 op_sel_hi:[0,1]
	v_add_f16_e32 v9, v9, v48
	v_fma_f16 v28, v10, s47, -v16
	v_sub_f16_e32 v13, v13, v27
	v_fma_f16 v47, v2, s47, v24
	v_pk_fma_f16 v24, v2, s7, v24 op_sel_hi:[0,1,1] neg_lo:[0,0,1] neg_hi:[0,0,1]
	v_pk_mul_f16 v49, v14, s15 op_sel_hi:[0,1]
	v_add_f16_e32 v9, v9, v28
	v_add_f16_e32 v28, v63, v54
	v_mul_f16_e32 v29, 0xba0c, v13
	v_pk_add_f16 v24, v24, v48 op_sel_hi:[1,0]
	v_fma_f16 v50, v10, s45, v49
	v_pk_fma_f16 v49, v10, s10, v49 op_sel_hi:[0,1,1] neg_lo:[0,0,1] neg_hi:[0,0,1]
	v_fma_f16 v37, v28, s43, -v29
	v_sub_f16_e32 v12, v12, v26
	v_add_f16_e32 v47, v47, v48
	v_pk_add_f16 v24, v24, v49
	v_pk_mul_f16 v49, v13, s17 op_sel_hi:[0,1]
	v_add_f16_e32 v9, v9, v37
	v_add_f16_e32 v37, v59, v53
	v_mul_f16_e32 v41, 0x3b47, v12
	v_add_f16_e32 v47, v47, v50
	v_fma_f16 v50, v28, s31, v49
	v_pk_fma_f16 v49, v28, s11, v49 op_sel_hi:[0,1,1] neg_lo:[0,0,1] neg_hi:[0,0,1]
	v_fma_f16 v42, v37, s45, -v41
	v_pk_add_f16 v24, v24, v49
	v_pk_mul_f16 v49, v12, s19 op_sel_hi:[0,1]
	v_add_f16_e32 v9, v9, v42
	v_add_f16_e32 v42, v56, v52
	;; [unrolled: 1-line block ×3, first 2 shown]
	v_fma_f16 v50, v37, s43, v49
	v_pk_fma_f16 v49, v37, s16, v49 op_sel_hi:[0,1,1] neg_lo:[0,0,1] neg_hi:[0,0,1]
	v_add_f16_e32 v47, v47, v50
	v_pk_add_f16 v24, v24, v49
	v_pk_mul_f16 v49, v42, s18 op_sel_hi:[0,1]
	v_pk_mul_f16 v50, v17, s21 op_sel_hi:[0,1]
	v_add_f16_e32 v49, v49, v50
	v_pk_fma_f16 v51, v42, s18, v50 op_sel_hi:[0,1,1] neg_lo:[0,0,1] neg_hi:[0,0,1]
	v_add_f16_e32 v56, v47, v49
	v_pk_mul_f16 v47, v3, s22 op_sel_hi:[0,1]
	v_pk_mul_f16 v3, v3, s34 op_sel_hi:[0,1]
	v_mul_f16_e32 v4, 0xbbad, v2
	v_pk_add_f16 v63, v24, v51
	v_pk_mul_f16 v24, v2, s20 op_sel_hi:[0,1]
	v_pk_fma_f16 v49, v2, s20, v47 op_sel_hi:[0,1,1] neg_lo:[0,0,1] neg_hi:[0,0,1]
	v_pk_fma_f16 v2, v2, s33, v3 op_sel_hi:[0,1,1]
	v_pk_mul_f16 v3, v14, s36 op_sel_hi:[0,1]
	v_pk_add_f16 v2, v2, v48 op_sel_hi:[1,0]
	v_pk_fma_f16 v3, v10, s35, v3 op_sel_hi:[0,1,1]
	v_pk_add_f16 v2, v2, v3
	v_pk_mul_f16 v3, v13, s38 op_sel_hi:[0,1]
	v_pk_fma_f16 v3, v28, s37, v3 op_sel_hi:[0,1,1]
	v_pk_add_f16 v2, v2, v3
	v_pk_mul_f16 v3, v12, s40 op_sel_hi:[0,1]
	;; [unrolled: 3-line block ×3, first 2 shown]
	v_pk_mul_f16 v51, v14, s24 op_sel_hi:[0,1]
	v_pk_fma_f16 v3, v42, s41, v3 op_sel_hi:[0,1,1]
	v_mul_f16_e32 v15, 0x3abb, v10
	v_pk_mul_f16 v50, v10, s23 op_sel_hi:[0,1]
	v_pk_fma_f16 v52, v10, s23, v51 op_sel_hi:[0,1,1] neg_lo:[0,0,1] neg_hi:[0,0,1]
	v_pk_add_f16 v10, v2, v3
	v_mul_f16_e32 v3, 0xbbeb, v17
	v_pk_mul_f16 v55, v12, s28 op_sel_hi:[0,1]
	v_fma_f16 v12, v42, s31, -v3
	v_bfi_b32 v4, s6, v4, v24
	v_bfi_b32 v5, s6, v5, v47
	v_pk_add_f16 v49, v49, v48 op_sel_hi:[1,0]
	v_add_f16_e32 v65, v9, v12
	v_pk_add_f16 v4, v4, v5
	v_bfi_b32 v5, s6, v15, v50
	v_bfi_b32 v9, s6, v16, v51
	v_mul_f16_e32 v27, 0xb93d, v28
	v_pk_add_f16 v49, v49, v52
	v_pk_mul_f16 v52, v28, s25 op_sel_hi:[0,1]
	v_pk_mul_f16 v53, v13, s26 op_sel_hi:[0,1]
	v_pk_add_f16 v4, v4, v48 op_sel_hi:[1,0]
	v_pk_add_f16 v5, v5, v9
	v_pk_fma_f16 v54, v28, s25, v53 op_sel_hi:[0,1,1] neg_lo:[0,0,1] neg_hi:[0,0,1]
	v_pk_add_f16 v4, v4, v5
	v_bfi_b32 v5, s6, v27, v52
	v_bfi_b32 v9, s6, v29, v53
	v_mul_f16_e32 v26, 0x36a6, v37
	v_pk_add_f16 v49, v49, v54
	v_pk_mul_f16 v54, v37, s27 op_sel_hi:[0,1]
	v_pk_fma_f16 v59, v37, s27, v55 op_sel_hi:[0,1,1] neg_lo:[0,0,1] neg_hi:[0,0,1]
	v_pk_add_f16 v5, v5, v9
	v_pk_add_f16 v49, v49, v59
	v_pk_mul_f16 v59, v42, s29 op_sel_hi:[0,1]
	v_pk_mul_f16 v61, v17, s30 op_sel_hi:[0,1]
	v_mul_f16_e32 v2, 0xb08e, v42
	v_pk_add_f16 v4, v4, v5
	v_bfi_b32 v5, s6, v26, v54
	v_bfi_b32 v9, s6, v41, v55
	v_pk_add_f16 v5, v5, v9
	v_bfi_b32 v2, s6, v2, v59
	v_bfi_b32 v3, s6, v3, v61
	v_pk_add_f16 v4, v4, v5
	v_pk_add_f16 v2, v2, v3
	s_movk_i32 s4, 0xffec
	v_pk_fma_f16 v64, v42, s29, v61 op_sel_hi:[0,1,1] neg_lo:[0,0,1] neg_hi:[0,0,1]
	v_pk_add_f16 v61, v4, v2
	v_mad_i32_i24 v2, v8, s4, v46
	v_pk_add_f16 v64, v49, v64
	s_waitcnt lgkmcnt(0)
	; wave barrier
	s_waitcnt lgkmcnt(0)
	v_mad_i32_i24 v12, v6, s4, v71
	ds_read_u16 v5, v2
	ds_read_u16 v41, v12 offset:1760
	ds_read_u16 v14, v12
	ds_read_u16 v4, v12 offset:220
	ds_read_u16 v3, v12 offset:330
	;; [unrolled: 1-line block ×22, first 2 shown]
	v_pk_add_f16 v58, v74, v83
	v_alignbit_b32 v59, v57, v58, 16
	v_alignbit_b32 v58, v58, v70, 16
	v_pack_b32_f16 v57, v72, v70
	v_add_u32_e32 v9, 0x6e, v6
	v_mul_i32_i24_e32 v13, 0xffffffec, v8
	s_waitcnt lgkmcnt(0)
	; wave barrier
	s_waitcnt lgkmcnt(0)
	ds_write_b128 v71, v[57:60]
	ds_write_b32 v71, v84 offset:16
	ds_write_b16 v71, v66 offset:20
	v_alignbit_b32 v60, v65, v64, 16
	v_alignbit_b32 v59, v64, v63, 16
	v_pack_b32_f16 v58, v62, v63
	ds_write_b128 v46, v[58:61]
	ds_write_b32 v46, v10 offset:16
	ds_write_b16 v46, v56 offset:20
	s_and_saveexec_b64 s[4:5], s[0:1]
	s_cbranch_execz .LBB0_19
; %bb.18:
	v_add_f16_e32 v10, v11, v43
	v_add_f16_e32 v10, v10, v39
	v_add_f16_e32 v10, v10, v36
	v_add_f16_e32 v10, v10, v33
	v_add_f16_e32 v10, v10, v30
	v_add_f16_e32 v10, v10, v32
	v_add_f16_e32 v10, v35, v10
	v_add_f16_e32 v10, v38, v10
	v_add_f16_e32 v10, v44, v10
	v_sub_f16_e32 v25, v25, v40
	v_add_f16_e32 v10, v45, v10
	v_add_f16_e32 v43, v43, v45
	s_mov_b32 s0, 0xbbad
	v_mul_f16_e32 v45, 0xb482, v25
	v_sub_f16_e32 v23, v23, v34
	v_fma_f16 v56, v43, s0, -v45
	v_add_f16_e32 v39, v39, v44
	s_movk_i32 s0, 0x3abb
	v_mul_f16_e32 v44, 0x3853, v23
	v_sub_f16_e32 v22, v22, v31
	v_add_f16_e32 v56, v11, v56
	v_fma_f16 v57, v39, s0, -v44
	v_add_f16_e32 v36, v36, v38
	s_mov_b32 s1, 0xb93d
	v_mul_f16_e32 v38, 0xba0c, v22
	v_sub_f16_e32 v20, v20, v21
	s_mov_b32 s10, 0xbb47b853
	v_add_f16_e32 v56, v56, v57
	v_fma_f16 v57, v36, s1, -v38
	v_add_f16_e32 v33, v33, v35
	s_movk_i32 s6, 0x36a6
	v_mul_f16_e32 v35, 0x3b47, v20
	v_sub_f16_e32 v18, v18, v19
	v_pk_mul_f16 v19, v25, s10 op_sel_hi:[0,1]
	v_add_f16_e32 v56, v56, v57
	v_fma_f16 v57, v33, s6, -v35
	v_add_f16_e32 v30, v30, v32
	v_fma_f16 v32, v43, s0, v19
	v_pk_fma_f16 v19, v43, s7, v19 op_sel_hi:[0,1,1] neg_lo:[0,0,1] neg_hi:[0,0,1]
	s_mov_b32 s7, 0xba0cbb47
	v_add_f16_e32 v56, v56, v57
	s_mov_b32 s0, 0xb93d36a6
	v_pk_mul_f16 v57, v23, s7 op_sel_hi:[0,1]
	v_pk_add_f16 v19, v11, v19 op_sel_hi:[0,1]
	v_fma_f16 v58, v39, s6, v57
	v_pk_fma_f16 v57, v39, s0, v57 op_sel_hi:[0,1,1] neg_lo:[0,0,1] neg_hi:[0,0,1]
	s_mov_b32 s6, 0x3482bbeb
	v_add_f16_e32 v32, v11, v32
	v_pk_add_f16 v19, v19, v57
	s_mov_b32 s0, 0xbbadb08e
	v_pk_mul_f16 v57, v22, s6 op_sel_hi:[0,1]
	s_mov_b32 s6, 0xb08e
	v_add_f16_e32 v32, v32, v58
	v_fma_f16 v58, v36, s6, v57
	v_pk_fma_f16 v57, v36, s0, v57 op_sel_hi:[0,1,1] neg_lo:[0,0,1] neg_hi:[0,0,1]
	s_mov_b32 s7, 0x3bebba0c
	v_pk_add_f16 v19, v19, v57
	s_mov_b32 s0, 0xb08eb93d
	v_pk_mul_f16 v57, v20, s7 op_sel_hi:[0,1]
	v_add_f16_e32 v32, v32, v58
	v_fma_f16 v58, v33, s1, v57
	v_pk_fma_f16 v57, v33, s0, v57 op_sel_hi:[0,1,1] neg_lo:[0,0,1] neg_hi:[0,0,1]
	s_mov_b32 s0, 0x3abbbbad
	s_mov_b32 s1, 0x3853b482
	v_add_f16_e32 v32, v32, v58
	v_pk_add_f16 v19, v19, v57
	v_pk_mul_f16 v57, v30, s0 op_sel_hi:[0,1]
	v_pk_mul_f16 v58, v18, s1 op_sel_hi:[0,1]
	s_mov_b32 s1, 0xba0cbbeb
	v_pk_fma_f16 v59, v30, s0, v58 op_sel_hi:[0,1,1] neg_lo:[0,0,1] neg_hi:[0,0,1]
	v_add_f16_e32 v57, v57, v58
	s_mov_b32 s0, 0xb93db08e
	v_pk_mul_f16 v58, v25, s1 op_sel_hi:[0,1]
	s_mov_b32 s1, 0x3beb3482
	v_add_f16_e32 v32, v32, v57
	v_pk_add_f16 v57, v19, v59
	v_pk_mul_f16 v19, v43, s0 op_sel_hi:[0,1]
	v_pk_fma_f16 v59, v43, s0, v58 op_sel_hi:[0,1,1] neg_lo:[0,0,1] neg_hi:[0,0,1]
	s_mov_b32 s0, 0xb08ebbad
	v_pk_mul_f16 v61, v23, s1 op_sel_hi:[0,1]
	s_mov_b32 s1, 0xb8533b47
	v_pk_add_f16 v59, v11, v59 op_sel_hi:[0,1]
	v_pk_mul_f16 v60, v39, s0 op_sel_hi:[0,1]
	v_pk_fma_f16 v62, v39, s0, v61 op_sel_hi:[0,1,1] neg_lo:[0,0,1] neg_hi:[0,0,1]
	s_mov_b32 s0, 0x3abb36a6
	v_pk_mul_f16 v63, v22, s1 op_sel_hi:[0,1]
	s_mov_b32 s1, 0xb482b853
	v_pk_add_f16 v59, v59, v62
	v_pk_mul_f16 v62, v36, s0 op_sel_hi:[0,1]
	v_pk_fma_f16 v64, v36, s0, v63 op_sel_hi:[0,1,1] neg_lo:[0,0,1] neg_hi:[0,0,1]
	s_mov_b32 s0, 0xbbad3abb
	v_pk_mul_f16 v65, v20, s1 op_sel_hi:[0,1]
	s_mov_b32 s1, 0x3b47ba0c
	v_pk_add_f16 v59, v59, v64
	;; [unrolled: 6-line block ×3, first 2 shown]
	v_pk_mul_f16 v66, v30, s0 op_sel_hi:[0,1]
	v_pk_fma_f16 v68, v30, s0, v67 op_sel_hi:[0,1,1] neg_lo:[0,0,1] neg_hi:[0,0,1]
	s_mov_b32 s0, 0x36a6b08e
	v_pk_mul_f16 v25, v25, s1 op_sel_hi:[0,1]
	s_mov_b32 s1, 0xba0c3482
	v_pk_fma_f16 v25, v43, s0, v25 op_sel_hi:[0,1,1]
	s_mov_b32 s0, 0xb93dbbad
	v_pk_mul_f16 v23, v23, s1 op_sel_hi:[0,1]
	s_mov_b32 s1, 0x34823b47
	v_pk_add_f16 v25, v11, v25 op_sel_hi:[0,1]
	v_pk_fma_f16 v23, v39, s0, v23 op_sel_hi:[0,1,1]
	s_mov_b32 s0, 0xbbad36a6
	v_pk_mul_f16 v22, v22, s1 op_sel_hi:[0,1]
	s_mov_b32 s1, 0x3bebb853
	v_pk_add_f16 v23, v25, v23
	v_pk_fma_f16 v22, v36, s0, v22 op_sel_hi:[0,1,1]
	s_mov_b32 s0, 0xb08e3abb
	v_pk_mul_f16 v20, v20, s1 op_sel_hi:[0,1]
	v_pk_add_f16 v22, v23, v22
	v_pk_fma_f16 v20, v33, s0, v20 op_sel_hi:[0,1,1]
	s_mov_b32 s1, 0x3853ba0c
	v_pk_add_f16 v20, v22, v20
	s_mov_b32 s0, 0x3abbb93d
	v_pk_mul_f16 v22, v18, s1 op_sel_hi:[0,1]
	v_mul_f16_e32 v40, 0xbbad, v43
	v_pk_fma_f16 v22, v30, s0, v22 op_sel_hi:[0,1,1]
	v_mul_f16_e32 v18, 0xbbeb, v18
	s_mov_b32 s0, 0xffff
	v_pk_add_f16 v22, v20, v22
	v_mul_f16_e32 v20, 0xb08e, v30
	v_fma_f16 v25, v30, s6, -v18
	v_bfi_b32 v19, s0, v40, v19
	v_bfi_b32 v30, s0, v45, v58
	v_mul_f16_e32 v34, 0x3abb, v39
	v_pk_add_f16 v19, v19, v30
	v_pk_add_f16 v11, v11, v19 op_sel_hi:[0,1]
	v_bfi_b32 v19, s0, v34, v60
	v_bfi_b32 v30, s0, v44, v61
	v_mul_f16_e32 v31, 0xb93d, v36
	v_pk_add_f16 v19, v19, v30
	v_pk_add_f16 v11, v11, v19
	v_bfi_b32 v19, s0, v31, v62
	v_bfi_b32 v30, s0, v38, v63
	v_mul_f16_e32 v21, 0x36a6, v33
	v_pk_add_f16 v19, v19, v30
	v_pk_add_f16 v11, v11, v19
	v_bfi_b32 v19, s0, v21, v64
	v_bfi_b32 v21, s0, v35, v65
	v_pk_add_f16 v19, v19, v21
	v_pk_add_f16 v11, v11, v19
	v_bfi_b32 v19, s0, v20, v66
	v_bfi_b32 v18, s0, v18, v67
	v_pk_add_f16 v23, v59, v68
	v_add_f16_e32 v25, v56, v25
	v_pk_add_f16 v18, v19, v18
	v_pk_add_f16 v21, v11, v18
	v_mad_u32_u24 v11, v9, 22, 0
	v_alignbit_b32 v20, v25, v23, 16
	v_alignbit_b32 v19, v23, v57, 16
	v_pack_b32_f16 v18, v10, v57
	ds_write_b128 v11, v[18:21]
	ds_write_b32 v11, v22 offset:16
	ds_write_b16 v11, v32 offset:20
.LBB0_19:
	s_or_b64 exec, exec, s[4:5]
	s_movk_i32 s0, 0x75
	v_mul_lo_u16_sdwa v10, v6, s0 dst_sel:DWORD dst_unused:UNUSED_PAD src0_sel:BYTE_0 src1_sel:DWORD
	v_sub_u16_sdwa v11, v6, v10 dst_sel:DWORD dst_unused:UNUSED_PAD src0_sel:DWORD src1_sel:BYTE_1
	v_lshrrev_b16_e32 v11, 1, v11
	v_and_b32_e32 v11, 0x7f, v11
	v_add_u16_sdwa v10, v11, v10 dst_sel:DWORD dst_unused:UNUSED_PAD src0_sel:DWORD src1_sel:BYTE_1
	v_lshrrev_b16_e32 v22, 3, v10
	v_mul_lo_u16_e32 v10, 11, v22
	v_sub_u16_e32 v23, v6, v10
	v_mov_b32_e32 v25, 4
	v_lshlrev_b32_sdwa v10, v25, v23 dst_sel:DWORD dst_unused:UNUSED_PAD src0_sel:DWORD src1_sel:BYTE_0
	s_waitcnt lgkmcnt(0)
	; wave barrier
	s_waitcnt lgkmcnt(0)
	global_load_dwordx4 v[18:21], v10, s[8:9]
	v_mul_lo_u16_sdwa v10, v8, s0 dst_sel:DWORD dst_unused:UNUSED_PAD src0_sel:BYTE_0 src1_sel:DWORD
	v_sub_u16_sdwa v11, v8, v10 dst_sel:DWORD dst_unused:UNUSED_PAD src0_sel:DWORD src1_sel:BYTE_1
	v_lshrrev_b16_e32 v11, 1, v11
	v_and_b32_e32 v11, 0x7f, v11
	v_add_u16_sdwa v10, v11, v10 dst_sel:DWORD dst_unused:UNUSED_PAD src0_sel:DWORD src1_sel:BYTE_1
	v_lshrrev_b16_e32 v34, 3, v10
	v_mul_lo_u16_e32 v10, 11, v34
	v_sub_u16_e32 v35, v8, v10
	v_lshlrev_b32_sdwa v10, v25, v35 dst_sel:DWORD dst_unused:UNUSED_PAD src0_sel:DWORD src1_sel:BYTE_0
	global_load_dwordx4 v[30:33], v10, s[8:9]
	v_mul_lo_u16_sdwa v10, v9, s0 dst_sel:DWORD dst_unused:UNUSED_PAD src0_sel:BYTE_0 src1_sel:DWORD
	v_sub_u16_sdwa v11, v9, v10 dst_sel:DWORD dst_unused:UNUSED_PAD src0_sel:DWORD src1_sel:BYTE_1
	v_lshrrev_b16_e32 v11, 1, v11
	v_and_b32_e32 v11, 0x7f, v11
	v_add_u16_sdwa v10, v11, v10 dst_sel:DWORD dst_unused:UNUSED_PAD src0_sel:DWORD src1_sel:BYTE_1
	v_add_u32_e32 v11, 0xa5, v6
	v_mul_lo_u16_sdwa v40, v11, s0 dst_sel:DWORD dst_unused:UNUSED_PAD src0_sel:BYTE_0 src1_sel:DWORD
	v_lshrrev_b16_e32 v36, 3, v10
	v_sub_u16_sdwa v43, v11, v40 dst_sel:DWORD dst_unused:UNUSED_PAD src0_sel:DWORD src1_sel:BYTE_1
	v_mul_lo_u16_e32 v10, 11, v36
	v_lshrrev_b16_e32 v43, 1, v43
	v_sub_u16_e32 v38, v9, v10
	v_and_b32_e32 v43, 0x7f, v43
	v_lshlrev_b32_sdwa v10, v25, v38 dst_sel:DWORD dst_unused:UNUSED_PAD src0_sel:DWORD src1_sel:BYTE_0
	v_add_u16_sdwa v40, v43, v40 dst_sel:DWORD dst_unused:UNUSED_PAD src0_sel:DWORD src1_sel:BYTE_1
	global_load_dwordx4 v[56:59], v10, s[8:9]
	v_lshrrev_b16_e32 v40, 3, v40
	v_add_u32_e32 v10, 0xdc, v6
	v_mul_lo_u16_e32 v43, 11, v40
	s_mov_b32 s0, 0xba2f
	v_sub_u16_e32 v64, v11, v43
	v_mul_u32_u24_sdwa v60, v10, s0 dst_sel:DWORD dst_unused:UNUSED_PAD src0_sel:WORD_0 src1_sel:DWORD
	v_lshlrev_b32_sdwa v25, v25, v64 dst_sel:DWORD dst_unused:UNUSED_PAD src0_sel:DWORD src1_sel:BYTE_0
	v_lshrrev_b32_e32 v73, 19, v60
	v_add_u32_e32 v13, v46, v13
	global_load_dwordx4 v[43:46], v25, s[8:9]
	v_mul_lo_u16_e32 v60, 11, v73
	v_sub_u16_e32 v74, v10, v60
	v_lshlrev_b32_e32 v60, 4, v74
	ds_read_u16 v39, v12 offset:1760
	ds_read_u16 v25, v12
	ds_read_u16 v65, v12 offset:220
	ds_read_u16 v66, v12 offset:330
	;; [unrolled: 1-line block ×8, first 2 shown]
	global_load_dwordx4 v[60:63], v60, s[8:9]
	ds_read_u16 v75, v12 offset:1870
	ds_read_u16 v76, v12 offset:1980
	;; [unrolled: 1-line block ×14, first 2 shown]
	ds_read_u16 v89, v13
	s_mov_b32 s4, 0xbb9c
	s_movk_i32 s7, 0x3b9c
	s_mov_b32 s5, 0xb8b4
	s_movk_i32 s10, 0x38b4
	s_movk_i32 s6, 0x34f2
	s_waitcnt lgkmcnt(0)
	; wave barrier
	s_waitcnt vmcnt(4) lgkmcnt(0)
	v_mul_f16_sdwa v90, v77, v18 dst_sel:DWORD dst_unused:UNUSED_PAD src0_sel:DWORD src1_sel:WORD_1
	v_mul_f16_sdwa v91, v53, v18 dst_sel:DWORD dst_unused:UNUSED_PAD src0_sel:DWORD src1_sel:WORD_1
	;; [unrolled: 1-line block ×3, first 2 shown]
	v_fma_f16 v53, v53, v18, v90
	v_fma_f16 v18, v77, v18, -v91
	v_fma_f16 v77, v55, v21, v96
	v_mul_f16_sdwa v55, v55, v21 dst_sel:DWORD dst_unused:UNUSED_PAD src0_sel:DWORD src1_sel:WORD_1
	v_fma_f16 v21, v87, v21, -v55
	v_mul_f16_sdwa v92, v81, v19 dst_sel:DWORD dst_unused:UNUSED_PAD src0_sel:DWORD src1_sel:WORD_1
	v_mul_f16_sdwa v94, v79, v20 dst_sel:DWORD dst_unused:UNUSED_PAD src0_sel:DWORD src1_sel:WORD_1
	s_waitcnt vmcnt(3)
	v_mul_f16_sdwa v55, v67, v30 dst_sel:DWORD dst_unused:UNUSED_PAD src0_sel:DWORD src1_sel:WORD_1
	v_fma_f16 v55, v50, v30, v55
	v_mul_f16_sdwa v50, v50, v30 dst_sel:DWORD dst_unused:UNUSED_PAD src0_sel:DWORD src1_sel:WORD_1
	v_fma_f16 v30, v67, v30, -v50
	v_mul_f16_sdwa v50, v70, v31 dst_sel:DWORD dst_unused:UNUSED_PAD src0_sel:DWORD src1_sel:WORD_1
	v_fma_f16 v50, v49, v31, v50
	v_mul_f16_sdwa v49, v49, v31 dst_sel:DWORD dst_unused:UNUSED_PAD src0_sel:DWORD src1_sel:WORD_1
	v_fma_f16 v31, v70, v31, -v49
	;; [unrolled: 4-line block ×3, first 2 shown]
	v_mul_f16_sdwa v39, v83, v33 dst_sel:DWORD dst_unused:UNUSED_PAD src0_sel:DWORD src1_sel:WORD_1
	v_mul_f16_sdwa v41, v51, v33 dst_sel:DWORD dst_unused:UNUSED_PAD src0_sel:DWORD src1_sel:WORD_1
	v_fma_f16 v39, v51, v33, v39
	v_fma_f16 v33, v83, v33, -v41
	s_waitcnt vmcnt(2)
	v_mul_f16_sdwa v41, v68, v56 dst_sel:DWORD dst_unused:UNUSED_PAD src0_sel:DWORD src1_sel:WORD_1
	v_fma_f16 v41, v47, v56, v41
	v_mul_f16_sdwa v47, v47, v56 dst_sel:DWORD dst_unused:UNUSED_PAD src0_sel:DWORD src1_sel:WORD_1
	v_fma_f16 v47, v68, v56, -v47
	v_mul_f16_sdwa v56, v75, v58 dst_sel:DWORD dst_unused:UNUSED_PAD src0_sel:DWORD src1_sel:WORD_1
	v_mul_f16_sdwa v51, v71, v57 dst_sel:DWORD dst_unused:UNUSED_PAD src0_sel:DWORD src1_sel:WORD_1
	v_fma_f16 v56, v37, v58, v56
	v_mul_f16_sdwa v37, v37, v58 dst_sel:DWORD dst_unused:UNUSED_PAD src0_sel:DWORD src1_sel:WORD_1
	v_fma_f16 v51, v42, v57, v51
	v_mul_f16_sdwa v42, v42, v57 dst_sel:DWORD dst_unused:UNUSED_PAD src0_sel:DWORD src1_sel:WORD_1
	v_fma_f16 v37, v75, v58, -v37
	s_waitcnt vmcnt(1)
	v_mul_f16_sdwa v58, v69, v43 dst_sel:DWORD dst_unused:UNUSED_PAD src0_sel:DWORD src1_sel:WORD_1
	v_fma_f16 v42, v71, v57, -v42
	v_mul_f16_sdwa v57, v84, v59 dst_sel:DWORD dst_unused:UNUSED_PAD src0_sel:DWORD src1_sel:WORD_1
	v_fma_f16 v58, v28, v43, v58
	v_mul_f16_sdwa v28, v28, v43 dst_sel:DWORD dst_unused:UNUSED_PAD src0_sel:DWORD src1_sel:WORD_1
	v_fma_f16 v57, v48, v59, v57
	v_mul_f16_sdwa v48, v48, v59 dst_sel:DWORD dst_unused:UNUSED_PAD src0_sel:DWORD src1_sel:WORD_1
	v_fma_f16 v28, v69, v43, -v28
	v_mul_f16_sdwa v43, v72, v44 dst_sel:DWORD dst_unused:UNUSED_PAD src0_sel:DWORD src1_sel:WORD_1
	v_fma_f16 v48, v84, v59, -v48
	v_fma_f16 v43, v27, v44, v43
	v_mul_f16_sdwa v27, v27, v44 dst_sel:DWORD dst_unused:UNUSED_PAD src0_sel:DWORD src1_sel:WORD_1
	s_waitcnt vmcnt(0)
	v_mul_f16_sdwa v59, v80, v61 dst_sel:DWORD dst_unused:UNUSED_PAD src0_sel:DWORD src1_sel:WORD_1
	v_fma_f16 v27, v72, v44, -v27
	v_mul_f16_sdwa v44, v76, v45 dst_sel:DWORD dst_unused:UNUSED_PAD src0_sel:DWORD src1_sel:WORD_1
	v_fma_f16 v59, v16, v61, v59
	v_mul_f16_sdwa v16, v16, v61 dst_sel:DWORD dst_unused:UNUSED_PAD src0_sel:DWORD src1_sel:WORD_1
	v_fma_f16 v44, v24, v45, v44
	v_mul_f16_sdwa v24, v24, v45 dst_sel:DWORD dst_unused:UNUSED_PAD src0_sel:DWORD src1_sel:WORD_1
	v_fma_f16 v16, v80, v61, -v16
	v_mul_f16_sdwa v61, v86, v63 dst_sel:DWORD dst_unused:UNUSED_PAD src0_sel:DWORD src1_sel:WORD_1
	v_mul_f16_sdwa v93, v54, v19 dst_sel:DWORD dst_unused:UNUSED_PAD src0_sel:DWORD src1_sel:WORD_1
	;; [unrolled: 1-line block ×3, first 2 shown]
	v_fma_f16 v54, v54, v19, v92
	v_fma_f16 v52, v52, v20, v94
	v_fma_f16 v24, v76, v45, -v24
	v_mul_f16_sdwa v45, v85, v46 dst_sel:DWORD dst_unused:UNUSED_PAD src0_sel:DWORD src1_sel:WORD_1
	v_fma_f16 v61, v15, v63, v61
	v_mul_f16_sdwa v15, v15, v63 dst_sel:DWORD dst_unused:UNUSED_PAD src0_sel:DWORD src1_sel:WORD_1
	v_fma_f16 v45, v29, v46, v45
	v_mul_f16_sdwa v29, v29, v46 dst_sel:DWORD dst_unused:UNUSED_PAD src0_sel:DWORD src1_sel:WORD_1
	v_fma_f16 v15, v86, v63, -v15
	v_add_f16_e32 v63, v54, v52
	v_fma_f16 v19, v81, v19, -v93
	v_fma_f16 v20, v79, v20, -v95
	;; [unrolled: 1-line block ×3, first 2 shown]
	v_mul_f16_sdwa v46, v82, v60 dst_sel:DWORD dst_unused:UNUSED_PAD src0_sel:DWORD src1_sel:WORD_1
	v_fma_f16 v63, v63, -0.5, v14
	v_sub_f16_e32 v67, v18, v21
	v_fma_f16 v46, v26, v60, v46
	v_mul_f16_sdwa v26, v26, v60 dst_sel:DWORD dst_unused:UNUSED_PAD src0_sel:DWORD src1_sel:WORD_1
	v_fma_f16 v68, v67, s4, v63
	v_sub_f16_e32 v69, v19, v20
	v_sub_f16_e32 v70, v53, v54
	;; [unrolled: 1-line block ×3, first 2 shown]
	v_fma_f16 v63, v67, s7, v63
	v_fma_f16 v26, v82, v60, -v26
	v_mul_f16_sdwa v60, v88, v62 dst_sel:DWORD dst_unused:UNUSED_PAD src0_sel:DWORD src1_sel:WORD_1
	v_fma_f16 v68, v69, s5, v68
	v_add_f16_e32 v70, v70, v71
	v_fma_f16 v63, v69, s10, v63
	v_fma_f16 v60, v17, v62, v60
	v_mul_f16_sdwa v17, v17, v62 dst_sel:DWORD dst_unused:UNUSED_PAD src0_sel:DWORD src1_sel:WORD_1
	v_fma_f16 v68, v70, s6, v68
	v_fma_f16 v63, v70, s6, v63
	v_add_f16_e32 v70, v53, v77
	v_fma_f16 v17, v88, v62, -v17
	v_add_f16_e32 v62, v14, v53
	v_fma_f16 v14, v70, -0.5, v14
	v_fma_f16 v70, v69, s7, v14
	v_sub_f16_e32 v71, v54, v53
	v_sub_f16_e32 v72, v52, v77
	v_fma_f16 v14, v69, s4, v14
	v_add_f16_e32 v69, v19, v20
	v_add_f16_e32 v62, v62, v54
	v_fma_f16 v70, v67, s5, v70
	v_add_f16_e32 v71, v71, v72
	v_fma_f16 v14, v67, s10, v14
	v_fma_f16 v69, v69, -0.5, v25
	v_sub_f16_e32 v53, v53, v77
	v_add_f16_e32 v62, v62, v52
	v_fma_f16 v70, v71, s6, v70
	v_fma_f16 v14, v71, s6, v14
	;; [unrolled: 1-line block ×3, first 2 shown]
	v_sub_f16_e32 v52, v54, v52
	v_fma_f16 v54, v52, s10, v71
	v_sub_f16_e32 v71, v18, v19
	v_sub_f16_e32 v72, v21, v20
	v_fma_f16 v69, v53, s4, v69
	v_add_f16_e32 v67, v25, v18
	v_add_f16_e32 v71, v71, v72
	v_fma_f16 v69, v52, s5, v69
	v_add_f16_e32 v67, v67, v19
	v_fma_f16 v54, v71, s6, v54
	v_fma_f16 v69, v71, s6, v69
	v_add_f16_e32 v71, v18, v21
	v_add_f16_e32 v67, v67, v20
	v_fma_f16 v25, v71, -0.5, v25
	v_add_f16_e32 v67, v67, v21
	v_fma_f16 v71, v52, s4, v25
	v_sub_f16_e32 v18, v19, v18
	v_sub_f16_e32 v19, v20, v21
	v_add_f16_e32 v21, v50, v49
	v_fma_f16 v71, v53, s10, v71
	v_add_f16_e32 v18, v18, v19
	v_fma_f16 v20, v52, s7, v25
	v_fma_f16 v21, v21, -0.5, v5
	v_sub_f16_e32 v25, v30, v33
	v_fma_f16 v19, v18, s6, v71
	v_fma_f16 v20, v53, s5, v20
	;; [unrolled: 1-line block ×3, first 2 shown]
	v_sub_f16_e32 v53, v31, v32
	v_sub_f16_e32 v71, v55, v50
	;; [unrolled: 1-line block ×3, first 2 shown]
	v_fma_f16 v21, v25, s7, v21
	v_fma_f16 v52, v53, s5, v52
	v_add_f16_e32 v71, v71, v72
	v_fma_f16 v21, v53, s10, v21
	v_fma_f16 v18, v18, s6, v20
	v_add_f16_e32 v20, v5, v55
	;; [unrolled: 3-line block ×3, first 2 shown]
	v_add_f16_e32 v20, v20, v50
	v_fma_f16 v5, v71, -0.5, v5
	v_add_f16_e32 v20, v20, v49
	v_fma_f16 v71, v53, s7, v5
	v_fma_f16 v5, v53, s4, v5
	v_add_f16_e32 v53, v31, v32
	v_add_f16_e32 v20, v20, v39
	v_sub_f16_e32 v72, v50, v55
	v_sub_f16_e32 v75, v49, v39
	v_fma_f16 v53, v53, -0.5, v89
	v_sub_f16_e32 v39, v55, v39
	v_fma_f16 v71, v25, s5, v71
	v_add_f16_e32 v72, v72, v75
	v_fma_f16 v5, v25, s10, v5
	v_fma_f16 v55, v39, s7, v53
	v_sub_f16_e32 v49, v50, v49
	v_fma_f16 v71, v72, s6, v71
	v_fma_f16 v5, v72, s6, v5
	;; [unrolled: 1-line block ×3, first 2 shown]
	v_sub_f16_e32 v55, v30, v31
	v_sub_f16_e32 v72, v33, v32
	v_fma_f16 v53, v39, s4, v53
	v_add_f16_e32 v25, v89, v30
	v_add_f16_e32 v55, v55, v72
	v_fma_f16 v53, v49, s5, v53
	v_add_f16_e32 v25, v25, v31
	v_fma_f16 v50, v55, s6, v50
	v_fma_f16 v53, v55, s6, v53
	v_add_f16_e32 v55, v30, v33
	v_add_f16_e32 v25, v25, v32
	v_fma_f16 v55, v55, -0.5, v89
	v_add_f16_e32 v25, v25, v33
	v_fma_f16 v72, v49, s4, v55
	v_sub_f16_e32 v30, v31, v30
	v_sub_f16_e32 v31, v32, v33
	v_fma_f16 v32, v49, s7, v55
	v_add_f16_e32 v33, v51, v56
	v_fma_f16 v72, v39, s10, v72
	v_add_f16_e32 v30, v30, v31
	v_fma_f16 v32, v39, s5, v32
	v_fma_f16 v33, v33, -0.5, v4
	v_sub_f16_e32 v39, v47, v48
	v_fma_f16 v31, v30, s6, v72
	v_fma_f16 v49, v39, s4, v33
	v_sub_f16_e32 v55, v42, v37
	v_sub_f16_e32 v72, v41, v51
	;; [unrolled: 1-line block ×3, first 2 shown]
	v_fma_f16 v33, v39, s7, v33
	v_fma_f16 v49, v55, s5, v49
	v_add_f16_e32 v72, v72, v75
	v_fma_f16 v33, v55, s10, v33
	v_fma_f16 v49, v72, s6, v49
	;; [unrolled: 1-line block ×3, first 2 shown]
	v_add_f16_e32 v72, v41, v57
	v_fma_f16 v30, v30, s6, v32
	v_add_f16_e32 v32, v4, v41
	v_fma_f16 v4, v72, -0.5, v4
	v_add_f16_e32 v32, v32, v51
	v_fma_f16 v72, v55, s7, v4
	v_fma_f16 v4, v55, s4, v4
	v_add_f16_e32 v55, v42, v37
	v_add_f16_e32 v32, v32, v56
	v_sub_f16_e32 v75, v51, v41
	v_sub_f16_e32 v76, v56, v57
	v_fma_f16 v55, v55, -0.5, v65
	v_sub_f16_e32 v41, v41, v57
	v_add_f16_e32 v32, v32, v57
	v_fma_f16 v72, v39, s5, v72
	v_add_f16_e32 v75, v75, v76
	v_fma_f16 v4, v39, s10, v4
	v_fma_f16 v57, v41, s7, v55
	v_sub_f16_e32 v51, v51, v56
	v_fma_f16 v72, v75, s6, v72
	v_fma_f16 v4, v75, s6, v4
	;; [unrolled: 1-line block ×3, first 2 shown]
	v_sub_f16_e32 v57, v47, v42
	v_sub_f16_e32 v75, v48, v37
	v_fma_f16 v55, v41, s4, v55
	v_add_f16_e32 v57, v57, v75
	v_fma_f16 v55, v51, s5, v55
	v_fma_f16 v56, v57, s6, v56
	v_fma_f16 v55, v57, s6, v55
	v_add_f16_e32 v57, v47, v48
	v_add_f16_e32 v39, v65, v47
	v_fma_f16 v57, v57, -0.5, v65
	v_add_f16_e32 v39, v39, v42
	v_fma_f16 v65, v51, s4, v57
	v_sub_f16_e32 v42, v42, v47
	v_fma_f16 v47, v51, s7, v57
	v_add_f16_e32 v39, v39, v37
	v_fma_f16 v65, v41, s10, v65
	v_sub_f16_e32 v37, v37, v48
	v_fma_f16 v41, v41, s5, v47
	v_add_f16_e32 v47, v43, v44
	v_add_f16_e32 v39, v39, v48
	;; [unrolled: 1-line block ×3, first 2 shown]
	v_fma_f16 v47, v47, -0.5, v3
	v_sub_f16_e32 v48, v28, v29
	v_fma_f16 v42, v37, s6, v65
	v_fma_f16 v51, v48, s4, v47
	v_sub_f16_e32 v57, v27, v24
	v_sub_f16_e32 v65, v58, v43
	;; [unrolled: 1-line block ×3, first 2 shown]
	v_fma_f16 v47, v48, s7, v47
	v_fma_f16 v51, v57, s5, v51
	v_add_f16_e32 v65, v65, v75
	v_fma_f16 v47, v57, s10, v47
	v_fma_f16 v37, v37, s6, v41
	v_add_f16_e32 v41, v3, v58
	;; [unrolled: 3-line block ×3, first 2 shown]
	v_add_f16_e32 v41, v41, v43
	v_fma_f16 v3, v65, -0.5, v3
	v_add_f16_e32 v41, v41, v44
	v_fma_f16 v65, v57, s7, v3
	v_fma_f16 v3, v57, s4, v3
	v_add_f16_e32 v57, v27, v24
	v_add_f16_e32 v41, v41, v45
	v_sub_f16_e32 v75, v43, v58
	v_sub_f16_e32 v76, v44, v45
	v_fma_f16 v57, v57, -0.5, v66
	v_sub_f16_e32 v45, v58, v45
	v_fma_f16 v65, v48, s5, v65
	v_add_f16_e32 v75, v75, v76
	v_fma_f16 v3, v48, s10, v3
	v_fma_f16 v58, v45, s7, v57
	v_sub_f16_e32 v43, v43, v44
	v_fma_f16 v65, v75, s6, v65
	v_fma_f16 v3, v75, s6, v3
	;; [unrolled: 1-line block ×3, first 2 shown]
	v_sub_f16_e32 v58, v28, v27
	v_sub_f16_e32 v75, v29, v24
	v_fma_f16 v57, v45, s4, v57
	v_add_f16_e32 v48, v66, v28
	v_add_f16_e32 v58, v58, v75
	v_fma_f16 v57, v43, s5, v57
	v_add_f16_e32 v48, v48, v27
	v_fma_f16 v44, v58, s6, v44
	v_fma_f16 v57, v58, s6, v57
	v_add_f16_e32 v58, v28, v29
	v_add_f16_e32 v48, v48, v24
	v_fma_f16 v58, v58, -0.5, v66
	v_add_f16_e32 v48, v48, v29
	v_fma_f16 v66, v43, s4, v58
	v_sub_f16_e32 v27, v27, v28
	v_sub_f16_e32 v24, v24, v29
	v_add_f16_e32 v29, v59, v60
	v_fma_f16 v66, v45, s10, v66
	v_add_f16_e32 v24, v27, v24
	v_fma_f16 v28, v43, s7, v58
	v_fma_f16 v29, v29, -0.5, v2
	v_sub_f16_e32 v43, v26, v15
	v_fma_f16 v27, v24, s6, v66
	v_fma_f16 v28, v45, s5, v28
	;; [unrolled: 1-line block ×3, first 2 shown]
	v_sub_f16_e32 v58, v16, v17
	v_sub_f16_e32 v66, v46, v59
	v_sub_f16_e32 v75, v61, v60
	v_fma_f16 v29, v43, s7, v29
	v_fma_f16 v45, v58, s5, v45
	v_add_f16_e32 v66, v66, v75
	v_fma_f16 v29, v58, s10, v29
	v_fma_f16 v45, v66, s6, v45
	;; [unrolled: 1-line block ×3, first 2 shown]
	v_add_f16_e32 v66, v46, v61
	v_fma_f16 v24, v24, s6, v28
	v_add_f16_e32 v28, v2, v46
	v_fma_f16 v2, v66, -0.5, v2
	v_add_f16_e32 v28, v28, v59
	v_fma_f16 v66, v58, s7, v2
	v_fma_f16 v2, v58, s4, v2
	v_add_f16_e32 v58, v16, v17
	v_add_f16_e32 v28, v28, v60
	v_sub_f16_e32 v75, v59, v46
	v_sub_f16_e32 v76, v60, v61
	v_fma_f16 v58, v58, -0.5, v78
	v_sub_f16_e32 v46, v46, v61
	v_add_f16_e32 v28, v28, v61
	v_fma_f16 v66, v43, s5, v66
	v_add_f16_e32 v75, v75, v76
	v_fma_f16 v2, v43, s10, v2
	v_fma_f16 v61, v46, s7, v58
	v_sub_f16_e32 v59, v59, v60
	v_fma_f16 v66, v75, s6, v66
	v_fma_f16 v2, v75, s6, v2
	;; [unrolled: 1-line block ×3, first 2 shown]
	v_sub_f16_e32 v61, v26, v16
	v_sub_f16_e32 v75, v15, v17
	v_fma_f16 v58, v46, s4, v58
	v_add_f16_e32 v43, v78, v26
	v_add_f16_e32 v61, v61, v75
	v_fma_f16 v58, v59, s5, v58
	v_add_f16_e32 v43, v43, v16
	v_fma_f16 v60, v61, s6, v60
	v_fma_f16 v58, v61, s6, v58
	v_add_f16_e32 v61, v26, v15
	v_add_f16_e32 v43, v43, v17
	v_fma_f16 v61, v61, -0.5, v78
	v_add_f16_e32 v43, v43, v15
	v_fma_f16 v75, v59, s4, v61
	v_sub_f16_e32 v16, v16, v26
	v_sub_f16_e32 v15, v17, v15
	v_fma_f16 v17, v59, s7, v61
	v_fma_f16 v75, v46, s10, v75
	v_add_f16_e32 v15, v16, v15
	v_fma_f16 v17, v46, s5, v17
	v_fma_f16 v16, v15, s6, v75
	;; [unrolled: 1-line block ×3, first 2 shown]
	v_mul_u32_u24_e32 v17, 0x6e, v22
	v_mov_b32_e32 v22, 1
	v_lshlrev_b32_sdwa v23, v22, v23 dst_sel:DWORD dst_unused:UNUSED_PAD src0_sel:DWORD src1_sel:BYTE_0
	v_add_f16_e32 v62, v62, v77
	v_add3_u32 v17, 0, v17, v23
	ds_write_b16 v17, v62
	ds_write_b16 v17, v68 offset:22
	ds_write_b16 v17, v70 offset:44
	ds_write_b16 v17, v14 offset:66
	ds_write_b16 v17, v63 offset:88
	v_mul_u32_u24_e32 v14, 0x6e, v34
	v_lshlrev_b32_sdwa v23, v22, v35 dst_sel:DWORD dst_unused:UNUSED_PAD src0_sel:DWORD src1_sel:BYTE_0
	v_add3_u32 v23, 0, v14, v23
	ds_write_b16 v23, v20
	ds_write_b16 v23, v52 offset:22
	ds_write_b16 v23, v71 offset:44
	ds_write_b16 v23, v5 offset:66
	ds_write_b16 v23, v21 offset:88
	v_mul_u32_u24_e32 v5, 0x6e, v36
	v_lshlrev_b32_sdwa v14, v22, v38 dst_sel:DWORD dst_unused:UNUSED_PAD src0_sel:DWORD src1_sel:BYTE_0
	;; [unrolled: 8-line block ×3, first 2 shown]
	v_add3_u32 v4, 0, v4, v14
	ds_write_b16 v4, v41
	ds_write_b16 v4, v51 offset:22
	ds_write_b16 v4, v65 offset:44
	;; [unrolled: 1-line block ×4, first 2 shown]
	v_mul_u32_u24_e32 v3, 0x6e, v73
	v_lshlrev_b32_e32 v14, 1, v74
	v_add3_u32 v3, 0, v3, v14
	ds_write_b16 v3, v28
	ds_write_b16 v3, v45 offset:22
	ds_write_b16 v3, v66 offset:44
	;; [unrolled: 1-line block ×4, first 2 shown]
	s_waitcnt lgkmcnt(0)
	; wave barrier
	s_waitcnt lgkmcnt(0)
	ds_read_u16 v32, v13
	ds_read_u16 v33, v12 offset:1760
	ds_read_u16 v34, v12
	ds_read_u16 v35, v12 offset:220
	ds_read_u16 v36, v12 offset:330
	;; [unrolled: 1-line block ×22, first 2 shown]
	s_waitcnt lgkmcnt(0)
	; wave barrier
	s_waitcnt lgkmcnt(0)
	ds_write_b16 v17, v67
	ds_write_b16 v17, v54 offset:22
	ds_write_b16 v17, v19 offset:44
	ds_write_b16 v17, v18 offset:66
	ds_write_b16 v17, v69 offset:88
	ds_write_b16 v23, v25
	ds_write_b16 v23, v50 offset:22
	ds_write_b16 v23, v31 offset:44
	ds_write_b16 v23, v30 offset:66
	ds_write_b16 v23, v53 offset:88
	;; [unrolled: 5-line block ×5, first 2 shown]
	v_lshlrev_b32_e32 v4, 2, v6
	v_mov_b32_e32 v5, 0
	v_lshlrev_b64 v[2:3], 2, v[4:5]
	v_mov_b32_e32 v4, s9
	v_add_co_u32_e64 v2, s[0:1], s8, v2
	v_addc_co_u32_e64 v3, s[0:1], v4, v3, s[0:1]
	s_waitcnt lgkmcnt(0)
	; wave barrier
	s_waitcnt lgkmcnt(0)
	global_load_dwordx4 v[15:18], v[2:3], off offset:176
	s_movk_i32 s0, 0x95
	v_mul_lo_u16_sdwa v4, v9, s0 dst_sel:DWORD dst_unused:UNUSED_PAD src0_sel:BYTE_0 src1_sel:DWORD
	v_lshrrev_b16_e32 v4, 13, v4
	v_mul_lo_u16_e32 v4, 55, v4
	v_sub_u16_e32 v4, v9, v4
	v_and_b32_e32 v4, 0xff, v4
	v_lshlrev_b32_e32 v19, 4, v4
	global_load_dwordx4 v[19:22], v19, s[8:9] offset:176
	v_mul_lo_u16_sdwa v23, v11, s0 dst_sel:DWORD dst_unused:UNUSED_PAD src0_sel:BYTE_0 src1_sel:DWORD
	v_lshrrev_b16_e32 v23, 13, v23
	v_mul_lo_u16_e32 v23, 55, v23
	v_sub_u16_e32 v23, v11, v23
	s_movk_i32 s0, 0x29e5
	v_and_b32_e32 v39, 0xff, v23
	v_mul_u32_u24_sdwa v27, v10, s0 dst_sel:DWORD dst_unused:UNUSED_PAD src0_sel:WORD_0 src1_sel:DWORD
	v_lshlrev_b32_e32 v23, 4, v39
	v_sub_u16_sdwa v28, v10, v27 dst_sel:DWORD dst_unused:UNUSED_PAD src0_sel:DWORD src1_sel:WORD_1
	ds_read_u16 v31, v13
	ds_read_u16 v37, v12 offset:1760
	global_load_dwordx4 v[23:26], v23, s[8:9] offset:176
	v_lshrrev_b16_e32 v28, 1, v28
	v_add_u16_sdwa v27, v28, v27 dst_sel:DWORD dst_unused:UNUSED_PAD src0_sel:DWORD src1_sel:WORD_1
	v_lshrrev_b16_e32 v27, 5, v27
	v_mul_lo_u16_e32 v27, 55, v27
	v_sub_u16_e32 v54, v10, v27
	v_lshlrev_b32_e32 v27, 4, v54
	ds_read_u16 v42, v12
	ds_read_u16 v43, v12 offset:220
	ds_read_u16 v44, v12 offset:330
	;; [unrolled: 1-line block ×5, first 2 shown]
	global_load_dwordx4 v[27:30], v27, s[8:9] offset:176
	ds_read_u16 v55, v12 offset:1210
	ds_read_u16 v56, v12 offset:1320
	;; [unrolled: 1-line block ×17, first 2 shown]
	v_lshl_add_u32 v4, v4, 1, 0
	v_lshl_add_u32 v54, v54, 1, 0
	s_waitcnt lgkmcnt(0)
	; wave barrier
	s_waitcnt vmcnt(3) lgkmcnt(0)
	v_mul_f16_sdwa v82, v67, v15 dst_sel:DWORD dst_unused:UNUSED_PAD src0_sel:DWORD src1_sel:WORD_1
	v_fma_f16 v82, v52, v15, v82
	v_mul_f16_sdwa v52, v52, v15 dst_sel:DWORD dst_unused:UNUSED_PAD src0_sel:DWORD src1_sel:WORD_1
	v_fma_f16 v52, v67, v15, -v52
	v_mul_f16_sdwa v67, v74, v16 dst_sel:DWORD dst_unused:UNUSED_PAD src0_sel:DWORD src1_sel:WORD_1
	v_fma_f16 v67, v62, v16, v67
	v_mul_f16_sdwa v62, v62, v16 dst_sel:DWORD dst_unused:UNUSED_PAD src0_sel:DWORD src1_sel:WORD_1
	v_fma_f16 v62, v74, v16, -v62
	;; [unrolled: 4-line block ×7, first 2 shown]
	v_mul_f16_sdwa v33, v76, v18 dst_sel:DWORD dst_unused:UNUSED_PAD src0_sel:DWORD src1_sel:WORD_1
	v_mul_f16_sdwa v37, v64, v18 dst_sel:DWORD dst_unused:UNUSED_PAD src0_sel:DWORD src1_sel:WORD_1
	v_fma_f16 v33, v64, v18, v33
	v_fma_f16 v18, v76, v18, -v37
	s_waitcnt vmcnt(2)
	v_mul_f16_sdwa v37, v50, v19 dst_sel:DWORD dst_unused:UNUSED_PAD src0_sel:DWORD src1_sel:WORD_1
	v_fma_f16 v37, v40, v19, v37
	v_mul_f16_sdwa v40, v40, v19 dst_sel:DWORD dst_unused:UNUSED_PAD src0_sel:DWORD src1_sel:WORD_1
	v_fma_f16 v19, v50, v19, -v40
	v_mul_f16_sdwa v40, v56, v20 dst_sel:DWORD dst_unused:UNUSED_PAD src0_sel:DWORD src1_sel:WORD_1
	v_fma_f16 v40, v46, v20, v40
	v_mul_f16_sdwa v46, v46, v20 dst_sel:DWORD dst_unused:UNUSED_PAD src0_sel:DWORD src1_sel:WORD_1
	v_fma_f16 v20, v56, v20, -v46
	v_mul_f16_sdwa v46, v58, v21 dst_sel:DWORD dst_unused:UNUSED_PAD src0_sel:DWORD src1_sel:WORD_1
	v_mul_f16_sdwa v48, v49, v21 dst_sel:DWORD dst_unused:UNUSED_PAD src0_sel:DWORD src1_sel:WORD_1
	v_fma_f16 v46, v49, v21, v46
	v_fma_f16 v21, v58, v21, -v48
	v_mul_f16_sdwa v48, v77, v22 dst_sel:DWORD dst_unused:UNUSED_PAD src0_sel:DWORD src1_sel:WORD_1
	v_mul_f16_sdwa v49, v65, v22 dst_sel:DWORD dst_unused:UNUSED_PAD src0_sel:DWORD src1_sel:WORD_1
	v_fma_f16 v48, v65, v22, v48
	v_fma_f16 v22, v77, v22, -v49
	s_waitcnt vmcnt(1)
	v_mul_f16_sdwa v49, v53, v23 dst_sel:DWORD dst_unused:UNUSED_PAD src0_sel:DWORD src1_sel:WORD_1
	v_fma_f16 v49, v41, v23, v49
	v_mul_f16_sdwa v41, v41, v23 dst_sel:DWORD dst_unused:UNUSED_PAD src0_sel:DWORD src1_sel:WORD_1
	v_fma_f16 v23, v53, v23, -v41
	v_mul_f16_sdwa v41, v57, v24 dst_sel:DWORD dst_unused:UNUSED_PAD src0_sel:DWORD src1_sel:WORD_1
	v_fma_f16 v41, v47, v24, v41
	v_mul_f16_sdwa v47, v47, v24 dst_sel:DWORD dst_unused:UNUSED_PAD src0_sel:DWORD src1_sel:WORD_1
	v_fma_f16 v24, v57, v24, -v47
	v_mul_f16_sdwa v47, v60, v25 dst_sel:DWORD dst_unused:UNUSED_PAD src0_sel:DWORD src1_sel:WORD_1
	v_mul_f16_sdwa v50, v51, v25 dst_sel:DWORD dst_unused:UNUSED_PAD src0_sel:DWORD src1_sel:WORD_1
	v_fma_f16 v47, v51, v25, v47
	v_fma_f16 v25, v60, v25, -v50
	v_mul_f16_sdwa v50, v78, v26 dst_sel:DWORD dst_unused:UNUSED_PAD src0_sel:DWORD src1_sel:WORD_1
	v_mul_f16_sdwa v51, v66, v26 dst_sel:DWORD dst_unused:UNUSED_PAD src0_sel:DWORD src1_sel:WORD_1
	v_fma_f16 v50, v66, v26, v50
	v_fma_f16 v26, v78, v26, -v51
	s_waitcnt vmcnt(0)
	v_mul_f16_sdwa v51, v75, v27 dst_sel:DWORD dst_unused:UNUSED_PAD src0_sel:DWORD src1_sel:WORD_1
	v_mul_f16_sdwa v53, v63, v27 dst_sel:DWORD dst_unused:UNUSED_PAD src0_sel:DWORD src1_sel:WORD_1
	v_add_f16_e32 v58, v67, v74
	v_fma_f16 v51, v63, v27, v51
	v_fma_f16 v27, v75, v27, -v53
	v_mul_f16_sdwa v53, v73, v28 dst_sel:DWORD dst_unused:UNUSED_PAD src0_sel:DWORD src1_sel:WORD_1
	v_fma_f16 v58, v58, -0.5, v34
	v_sub_f16_e32 v60, v52, v70
	v_fma_f16 v53, v61, v28, v53
	v_mul_f16_sdwa v55, v61, v28 dst_sel:DWORD dst_unused:UNUSED_PAD src0_sel:DWORD src1_sel:WORD_1
	v_fma_f16 v61, v60, s4, v58
	v_sub_f16_e32 v63, v62, v59
	v_sub_f16_e32 v64, v82, v67
	;; [unrolled: 1-line block ×3, first 2 shown]
	v_fma_f16 v58, v60, s7, v58
	v_fma_f16 v28, v73, v28, -v55
	v_mul_f16_sdwa v55, v81, v29 dst_sel:DWORD dst_unused:UNUSED_PAD src0_sel:DWORD src1_sel:WORD_1
	v_mul_f16_sdwa v56, v71, v29 dst_sel:DWORD dst_unused:UNUSED_PAD src0_sel:DWORD src1_sel:WORD_1
	v_fma_f16 v61, v63, s5, v61
	v_add_f16_e32 v64, v64, v65
	v_fma_f16 v58, v63, s10, v58
	v_fma_f16 v55, v71, v29, v55
	v_fma_f16 v29, v81, v29, -v56
	v_mul_f16_sdwa v56, v79, v30 dst_sel:DWORD dst_unused:UNUSED_PAD src0_sel:DWORD src1_sel:WORD_1
	v_mul_f16_sdwa v57, v68, v30 dst_sel:DWORD dst_unused:UNUSED_PAD src0_sel:DWORD src1_sel:WORD_1
	v_fma_f16 v61, v64, s6, v61
	v_fma_f16 v58, v64, s6, v58
	v_add_f16_e32 v64, v82, v72
	v_fma_f16 v56, v68, v30, v56
	v_fma_f16 v30, v79, v30, -v57
	v_add_f16_e32 v57, v34, v82
	v_fma_f16 v34, v64, -0.5, v34
	v_fma_f16 v64, v63, s7, v34
	v_sub_f16_e32 v65, v67, v82
	v_sub_f16_e32 v66, v74, v72
	v_fma_f16 v34, v63, s4, v34
	v_fma_f16 v64, v60, s5, v64
	v_add_f16_e32 v65, v65, v66
	v_fma_f16 v34, v60, s10, v34
	v_add_f16_e32 v63, v62, v59
	v_fma_f16 v64, v65, s6, v64
	v_fma_f16 v34, v65, s6, v34
	v_fma_f16 v63, v63, -0.5, v42
	v_sub_f16_e32 v65, v82, v72
	v_add_f16_e32 v57, v57, v67
	v_fma_f16 v66, v65, s7, v63
	v_sub_f16_e32 v67, v67, v74
	v_sub_f16_e32 v68, v52, v62
	;; [unrolled: 1-line block ×3, first 2 shown]
	v_fma_f16 v63, v65, s4, v63
	v_fma_f16 v66, v67, s10, v66
	v_add_f16_e32 v68, v68, v71
	v_fma_f16 v63, v67, s5, v63
	v_add_f16_e32 v60, v42, v52
	v_fma_f16 v66, v68, s6, v66
	v_fma_f16 v63, v68, s6, v63
	v_add_f16_e32 v68, v52, v70
	v_add_f16_e32 v60, v60, v62
	v_fma_f16 v42, v68, -0.5, v42
	v_add_f16_e32 v60, v60, v59
	v_fma_f16 v68, v67, s4, v42
	v_sub_f16_e32 v52, v62, v52
	v_sub_f16_e32 v59, v59, v70
	v_fma_f16 v42, v67, s7, v42
	v_add_f16_e32 v62, v38, v45
	v_fma_f16 v68, v65, s10, v68
	v_add_f16_e32 v52, v52, v59
	v_fma_f16 v42, v65, s5, v42
	v_fma_f16 v62, v62, -0.5, v32
	v_sub_f16_e32 v65, v15, v18
	v_add_f16_e32 v60, v60, v70
	v_fma_f16 v59, v52, s6, v68
	v_fma_f16 v67, v65, s4, v62
	v_sub_f16_e32 v68, v16, v17
	v_sub_f16_e32 v70, v80, v38
	;; [unrolled: 1-line block ×3, first 2 shown]
	v_fma_f16 v62, v65, s7, v62
	v_fma_f16 v67, v68, s5, v67
	v_add_f16_e32 v70, v70, v71
	v_fma_f16 v62, v68, s10, v62
	v_fma_f16 v52, v52, s6, v42
	v_add_f16_e32 v42, v32, v80
	;; [unrolled: 3-line block ×3, first 2 shown]
	v_add_f16_e32 v57, v57, v74
	v_add_f16_e32 v42, v42, v38
	v_fma_f16 v32, v70, -0.5, v32
	v_add_f16_e32 v57, v57, v72
	v_add_f16_e32 v42, v42, v45
	v_fma_f16 v70, v68, s7, v32
	v_sub_f16_e32 v71, v38, v80
	v_sub_f16_e32 v72, v45, v33
	v_fma_f16 v32, v68, s4, v32
	v_add_f16_e32 v68, v16, v17
	v_add_f16_e32 v42, v42, v33
	v_fma_f16 v70, v65, s5, v70
	v_add_f16_e32 v71, v71, v72
	v_fma_f16 v32, v65, s10, v32
	v_fma_f16 v68, v68, -0.5, v31
	v_sub_f16_e32 v33, v80, v33
	v_fma_f16 v70, v71, s6, v70
	v_fma_f16 v32, v71, s6, v32
	;; [unrolled: 1-line block ×3, first 2 shown]
	v_sub_f16_e32 v38, v38, v45
	v_fma_f16 v45, v38, s10, v71
	v_sub_f16_e32 v71, v15, v16
	v_sub_f16_e32 v72, v18, v17
	v_fma_f16 v68, v33, s4, v68
	v_add_f16_e32 v71, v71, v72
	v_fma_f16 v68, v38, s5, v68
	v_add_f16_e32 v65, v31, v15
	v_fma_f16 v45, v71, s6, v45
	v_fma_f16 v68, v71, s6, v68
	v_add_f16_e32 v71, v15, v18
	v_add_f16_e32 v65, v65, v16
	v_fma_f16 v31, v71, -0.5, v31
	v_sub_f16_e32 v15, v16, v15
	v_sub_f16_e32 v16, v17, v18
	v_add_f16_e32 v15, v15, v16
	v_fma_f16 v16, v38, s7, v31
	v_fma_f16 v16, v33, s5, v16
	;; [unrolled: 1-line block ×3, first 2 shown]
	v_add_f16_e32 v16, v40, v46
	v_add_f16_e32 v65, v65, v17
	v_fma_f16 v71, v38, s4, v31
	v_fma_f16 v16, v16, -0.5, v35
	v_sub_f16_e32 v17, v19, v22
	v_add_f16_e32 v65, v65, v18
	v_fma_f16 v71, v33, s10, v71
	v_fma_f16 v18, v17, s4, v16
	v_sub_f16_e32 v31, v20, v21
	v_sub_f16_e32 v33, v37, v40
	;; [unrolled: 1-line block ×3, first 2 shown]
	v_fma_f16 v16, v17, s7, v16
	v_fma_f16 v18, v31, s5, v18
	v_add_f16_e32 v33, v33, v38
	v_fma_f16 v16, v31, s10, v16
	v_fma_f16 v18, v33, s6, v18
	;; [unrolled: 1-line block ×3, first 2 shown]
	v_add_f16_e32 v33, v37, v48
	v_fma_f16 v33, v33, -0.5, v35
	v_fma_f16 v71, v15, s6, v71
	v_add_f16_e32 v15, v35, v37
	v_fma_f16 v35, v31, s7, v33
	v_fma_f16 v31, v31, s4, v33
	;; [unrolled: 1-line block ×4, first 2 shown]
	v_add_f16_e32 v31, v43, v19
	v_add_f16_e32 v31, v31, v20
	v_sub_f16_e32 v38, v40, v37
	v_sub_f16_e32 v73, v46, v48
	v_add_f16_e32 v31, v31, v21
	v_add_f16_e32 v38, v38, v73
	;; [unrolled: 1-line block ×5, first 2 shown]
	v_fma_f16 v31, v31, -0.5, v43
	v_sub_f16_e32 v33, v37, v48
	v_add_f16_e32 v15, v15, v46
	v_fma_f16 v35, v38, s6, v35
	v_fma_f16 v17, v38, s6, v17
	;; [unrolled: 1-line block ×3, first 2 shown]
	v_sub_f16_e32 v38, v40, v46
	v_sub_f16_e32 v40, v19, v20
	;; [unrolled: 1-line block ×3, first 2 shown]
	v_fma_f16 v31, v33, s4, v31
	v_add_f16_e32 v40, v40, v46
	v_fma_f16 v31, v38, s5, v31
	v_add_f16_e32 v15, v15, v48
	;; [unrolled: 2-line block ×3, first 2 shown]
	v_fma_f16 v31, v31, -0.5, v43
	v_sub_f16_e32 v19, v20, v19
	v_sub_f16_e32 v20, v21, v22
	v_fma_f16 v21, v38, s7, v31
	v_fma_f16 v37, v38, s10, v37
	v_add_f16_e32 v19, v19, v20
	v_fma_f16 v21, v33, s5, v21
	v_fma_f16 v46, v40, s6, v37
	;; [unrolled: 1-line block ×4, first 2 shown]
	v_add_f16_e32 v21, v41, v47
	v_fma_f16 v37, v33, s10, v37
	v_fma_f16 v21, v21, -0.5, v36
	v_sub_f16_e32 v22, v23, v26
	v_fma_f16 v20, v19, s6, v37
	v_fma_f16 v31, v22, s4, v21
	v_sub_f16_e32 v33, v24, v25
	v_sub_f16_e32 v37, v49, v41
	;; [unrolled: 1-line block ×3, first 2 shown]
	v_fma_f16 v21, v22, s7, v21
	v_fma_f16 v31, v33, s5, v31
	v_add_f16_e32 v37, v37, v38
	v_fma_f16 v21, v33, s10, v21
	v_fma_f16 v31, v37, s6, v31
	v_fma_f16 v21, v37, s6, v21
	v_add_f16_e32 v37, v49, v50
	v_add_f16_e32 v19, v36, v49
	v_fma_f16 v36, v37, -0.5, v36
	v_fma_f16 v37, v33, s7, v36
	v_fma_f16 v33, v33, s4, v36
	;; [unrolled: 1-line block ×4, first 2 shown]
	v_add_f16_e32 v33, v44, v23
	v_add_f16_e32 v33, v33, v24
	;; [unrolled: 1-line block ×3, first 2 shown]
	v_sub_f16_e32 v38, v41, v49
	v_sub_f16_e32 v40, v47, v50
	v_add_f16_e32 v75, v33, v26
	v_add_f16_e32 v33, v24, v25
	;; [unrolled: 1-line block ×3, first 2 shown]
	v_fma_f16 v33, v33, -0.5, v44
	v_sub_f16_e32 v36, v49, v50
	v_add_f16_e32 v19, v19, v41
	v_fma_f16 v37, v38, s6, v37
	v_fma_f16 v22, v38, s6, v22
	;; [unrolled: 1-line block ×3, first 2 shown]
	v_sub_f16_e32 v40, v41, v47
	v_sub_f16_e32 v41, v23, v24
	;; [unrolled: 1-line block ×3, first 2 shown]
	v_fma_f16 v33, v36, s4, v33
	v_add_f16_e32 v41, v41, v43
	v_fma_f16 v33, v40, s5, v33
	v_fma_f16 v49, v41, s6, v33
	v_add_f16_e32 v33, v23, v26
	v_fma_f16 v33, v33, -0.5, v44
	v_sub_f16_e32 v23, v24, v23
	v_sub_f16_e32 v24, v25, v26
	v_fma_f16 v25, v40, s7, v33
	v_fma_f16 v38, v40, s10, v38
	v_add_f16_e32 v23, v23, v24
	v_fma_f16 v25, v36, s5, v25
	v_add_f16_e32 v19, v19, v47
	v_fma_f16 v47, v41, s6, v38
	v_fma_f16 v38, v40, s4, v33
	;; [unrolled: 1-line block ×3, first 2 shown]
	v_add_f16_e32 v25, v53, v55
	v_fma_f16 v38, v36, s10, v38
	v_fma_f16 v25, v25, -0.5, v14
	v_sub_f16_e32 v33, v27, v30
	v_fma_f16 v24, v23, s6, v38
	v_fma_f16 v36, v33, s4, v25
	v_sub_f16_e32 v38, v28, v29
	v_sub_f16_e32 v40, v51, v53
	;; [unrolled: 1-line block ×3, first 2 shown]
	v_fma_f16 v25, v33, s7, v25
	v_fma_f16 v36, v38, s5, v36
	v_add_f16_e32 v40, v40, v41
	v_fma_f16 v25, v38, s10, v25
	v_fma_f16 v36, v40, s6, v36
	;; [unrolled: 1-line block ×3, first 2 shown]
	v_add_f16_e32 v40, v51, v56
	v_add_f16_e32 v23, v14, v51
	v_fma_f16 v14, v40, -0.5, v14
	v_fma_f16 v40, v38, s7, v14
	v_fma_f16 v14, v38, s4, v14
	;; [unrolled: 1-line block ×4, first 2 shown]
	v_add_f16_e32 v33, v69, v27
	v_add_f16_e32 v33, v33, v28
	;; [unrolled: 1-line block ×3, first 2 shown]
	v_sub_f16_e32 v41, v53, v51
	v_sub_f16_e32 v43, v55, v56
	v_add_f16_e32 v44, v33, v30
	v_add_f16_e32 v33, v28, v29
	;; [unrolled: 1-line block ×3, first 2 shown]
	v_fma_f16 v33, v33, -0.5, v69
	v_sub_f16_e32 v38, v51, v56
	v_add_f16_e32 v19, v19, v50
	v_fma_f16 v40, v41, s6, v40
	v_fma_f16 v14, v41, s6, v14
	v_fma_f16 v41, v38, s7, v33
	v_sub_f16_e32 v43, v53, v55
	v_sub_f16_e32 v50, v27, v28
	v_sub_f16_e32 v51, v30, v29
	v_fma_f16 v33, v38, s4, v33
	v_fma_f16 v41, v43, s10, v41
	v_add_f16_e32 v50, v50, v51
	v_fma_f16 v33, v43, s5, v33
	v_fma_f16 v51, v50, s6, v41
	;; [unrolled: 1-line block ×3, first 2 shown]
	v_add_f16_e32 v33, v27, v30
	v_add_f16_e32 v23, v23, v53
	v_fma_f16 v33, v33, -0.5, v69
	v_add_f16_e32 v23, v23, v55
	v_fma_f16 v41, v43, s4, v33
	v_sub_f16_e32 v27, v28, v27
	v_sub_f16_e32 v28, v29, v30
	v_fma_f16 v29, v43, s7, v33
	v_add_f16_e32 v23, v23, v56
	v_fma_f16 v41, v38, s10, v41
	v_add_f16_e32 v27, v27, v28
	v_fma_f16 v29, v38, s5, v29
	v_lshl_add_u32 v53, v39, 1, 0
	v_fma_f16 v28, v27, s6, v41
	v_fma_f16 v27, v27, s6, v29
	ds_write_b16 v12, v57
	ds_write_b16 v12, v61 offset:110
	ds_write_b16 v12, v64 offset:220
	;; [unrolled: 1-line block ×24, first 2 shown]
	s_waitcnt lgkmcnt(0)
	; wave barrier
	s_waitcnt lgkmcnt(0)
	ds_read_u16 v23, v13
	ds_read_u16 v29, v12 offset:1760
	ds_read_u16 v14, v12
	ds_read_u16 v34, v12 offset:220
	ds_read_u16 v42, v12 offset:330
	;; [unrolled: 1-line block ×22, first 2 shown]
	s_waitcnt lgkmcnt(0)
	; wave barrier
	s_waitcnt lgkmcnt(0)
	ds_write_b16 v12, v60
	ds_write_b16 v12, v66 offset:110
	ds_write_b16 v12, v59 offset:220
	;; [unrolled: 1-line block ×24, first 2 shown]
	s_waitcnt lgkmcnt(0)
	; wave barrier
	s_waitcnt lgkmcnt(0)
	s_and_saveexec_b64 s[0:1], vcc
	s_cbranch_execz .LBB0_21
; %bb.20:
	v_lshlrev_b32_e32 v4, 2, v10
	v_lshlrev_b64 v[26:27], 2, v[4:5]
	v_mov_b32_e32 v47, s9
	v_add_co_u32_e32 v26, vcc, s8, v26
	v_addc_co_u32_e32 v27, vcc, v47, v27, vcc
	global_load_dwordx4 v[48:51], v[26:27], off offset:1056
	v_lshlrev_b32_e32 v4, 2, v11
	v_lshlrev_b64 v[26:27], 2, v[4:5]
	ds_read_u16 v20, v12 offset:990
	ds_read_u16 v24, v12 offset:2640
	;; [unrolled: 1-line block ×14, first 2 shown]
	v_add_co_u32_e32 v26, vcc, s8, v26
	v_addc_co_u32_e32 v27, vcc, v47, v27, vcc
	global_load_dwordx4 v[52:55], v[26:27], off offset:1056
	ds_read_u16 v65, v12 offset:1760
	ds_read_u16 v66, v12 offset:1650
	;; [unrolled: 1-line block ×7, first 2 shown]
	s_waitcnt vmcnt(1)
	v_mul_f16_sdwa v26, v16, v48 dst_sel:DWORD dst_unused:UNUSED_PAD src0_sel:DWORD src1_sel:WORD_1
	v_mul_f16_sdwa v27, v15, v49 dst_sel:DWORD dst_unused:UNUSED_PAD src0_sel:DWORD src1_sel:WORD_1
	;; [unrolled: 1-line block ×4, first 2 shown]
	s_waitcnt lgkmcnt(14)
	v_mul_f16_sdwa v72, v20, v48 dst_sel:DWORD dst_unused:UNUSED_PAD src0_sel:DWORD src1_sel:WORD_1
	s_waitcnt lgkmcnt(4)
	v_mul_f16_sdwa v74, v4, v49 dst_sel:DWORD dst_unused:UNUSED_PAD src0_sel:DWORD src1_sel:WORD_1
	v_mul_f16_sdwa v75, v28, v50 dst_sel:DWORD dst_unused:UNUSED_PAD src0_sel:DWORD src1_sel:WORD_1
	v_fma_f16 v76, v20, v48, -v26
	v_fma_f16 v4, v4, v49, -v27
	;; [unrolled: 1-line block ×4, first 2 shown]
	v_fma_f16 v45, v16, v48, v72
	v_fma_f16 v49, v15, v49, v74
	;; [unrolled: 1-line block ×3, first 2 shown]
	v_sub_f16_e32 v15, v76, v4
	v_sub_f16_e32 v16, v27, v28
	v_add_f16_e32 v17, v4, v28
	v_add_f16_e32 v75, v76, v27
	v_mul_f16_sdwa v73, v24, v51 dst_sel:DWORD dst_unused:UNUSED_PAD src0_sel:DWORD src1_sel:WORD_1
	v_add_f16_e32 v80, v15, v16
	v_fma_f16 v81, v17, -0.5, v44
	v_fma_f16 v15, v75, -0.5, v44
	v_add_f16_e32 v44, v76, v44
	v_fma_f16 v48, v18, v51, v73
	v_add_f16_e32 v24, v49, v50
	v_sub_f16_e32 v72, v4, v28
	v_sub_f16_e32 v73, v4, v76
	v_add_f16_e32 v4, v4, v44
	v_sub_f16_e32 v71, v76, v27
	v_fma_f16 v83, v24, -0.5, v30
	v_add_f16_e32 v4, v28, v4
	v_sub_f16_e32 v18, v45, v49
	v_sub_f16_e32 v20, v48, v50
	;; [unrolled: 1-line block ×3, first 2 shown]
	v_add_f16_e32 v28, v27, v4
	v_fma_f16 v4, v71, s4, v83
	v_add_f16_e32 v82, v18, v20
	v_fma_f16 v4, v72, s5, v4
	v_fma_f16 v27, v82, s6, v4
	v_add_f16_e32 v4, v30, v45
	v_add_f16_e32 v79, v45, v48
	;; [unrolled: 1-line block ×4, first 2 shown]
	v_fma_f16 v73, v79, -0.5, v30
	v_add_f16_e32 v4, v4, v50
	v_fma_f16 v74, v72, s4, v73
	v_fma_f16 v73, v72, s7, v73
	v_add_f16_e32 v30, v48, v4
	s_waitcnt vmcnt(0)
	v_mul_f16_sdwa v4, v35, v52 dst_sel:DWORD dst_unused:UNUSED_PAD src0_sel:DWORD src1_sel:WORD_1
	v_fma_f16 v17, v71, s7, v83
	v_fma_f16 v74, v71, s10, v74
	;; [unrolled: 1-line block ×3, first 2 shown]
	v_fma_f16 v71, v60, v52, -v4
	v_lshlrev_b32_e32 v4, 2, v9
	v_sub_f16_e32 v26, v45, v48
	v_sub_f16_e32 v77, v49, v45
	v_lshlrev_b64 v[44:45], 2, v[4:5]
	v_sub_f16_e32 v51, v49, v50
	v_fma_f16 v18, v51, s7, v15
	v_fma_f16 v15, v51, s4, v15
	v_add_co_u32_e32 v44, vcc, s8, v44
	v_fma_f16 v16, v26, s4, v81
	v_fma_f16 v18, v26, s5, v18
	;; [unrolled: 1-line block ×4, first 2 shown]
	v_addc_co_u32_e32 v45, vcc, v47, v45, vcc
	v_sub_f16_e32 v78, v50, v48
	v_fma_f16 v16, v51, s5, v16
	v_fma_f16 v26, v51, s10, v26
	global_load_dwordx4 v[48:51], v[44:45], off offset:1056
	v_mul_f16_sdwa v45, v43, v55 dst_sel:DWORD dst_unused:UNUSED_PAD src0_sel:DWORD src1_sel:WORD_1
	v_add_f16_e32 v24, v77, v78
	v_fma_f16 v17, v72, s10, v17
	v_mul_f16_sdwa v4, v40, v53 dst_sel:DWORD dst_unused:UNUSED_PAD src0_sel:DWORD src1_sel:WORD_1
	v_fma_f16 v72, v46, v55, -v45
	v_mul_f16_sdwa v45, v41, v54 dst_sel:DWORD dst_unused:UNUSED_PAD src0_sel:DWORD src1_sel:WORD_1
	v_fma_f16 v15, v80, s6, v16
	v_fma_f16 v16, v82, s6, v17
	;; [unrolled: 1-line block ×4, first 2 shown]
	s_waitcnt lgkmcnt(3)
	v_fma_f16 v4, v67, v53, -v4
	v_fma_f16 v74, v59, v54, -v45
	v_sub_f16_e32 v44, v71, v4
	v_sub_f16_e32 v45, v72, v74
	v_fma_f16 v20, v20, s6, v75
	v_add_f16_e32 v75, v44, v45
	v_mul_f16_sdwa v44, v67, v53 dst_sel:DWORD dst_unused:UNUSED_PAD src0_sel:DWORD src1_sel:WORD_1
	v_fma_f16 v53, v40, v53, v44
	v_mul_f16_sdwa v40, v59, v54 dst_sel:DWORD dst_unused:UNUSED_PAD src0_sel:DWORD src1_sel:WORD_1
	v_fma_f16 v54, v41, v54, v40
	v_mul_f16_sdwa v40, v60, v52 dst_sel:DWORD dst_unused:UNUSED_PAD src0_sel:DWORD src1_sel:WORD_1
	v_fma_f16 v52, v35, v52, v40
	v_mul_f16_sdwa v35, v46, v55 dst_sel:DWORD dst_unused:UNUSED_PAD src0_sel:DWORD src1_sel:WORD_1
	v_fma_f16 v55, v43, v55, v35
	v_add_f16_e32 v40, v4, v74
	v_sub_f16_e32 v35, v52, v55
	v_fma_f16 v67, v40, -0.5, v64
	v_sub_f16_e32 v59, v53, v54
	v_fma_f16 v40, v35, s7, v67
	v_fma_f16 v40, v59, s10, v40
	;; [unrolled: 1-line block ×3, first 2 shown]
	v_sub_f16_e32 v40, v52, v53
	v_sub_f16_e32 v43, v55, v54
	v_add_f16_e32 v76, v40, v43
	v_add_f16_e32 v40, v53, v54
	v_fma_f16 v77, v40, -0.5, v42
	v_sub_f16_e32 v78, v71, v72
	v_fma_f16 v40, v78, s4, v77
	v_sub_f16_e32 v79, v4, v74
	v_fma_f16 v40, v79, s5, v40
	v_fma_f16 v44, v76, s6, v40
	v_add_f16_e32 v40, v71, v64
	v_add_f16_e32 v40, v4, v40
	;; [unrolled: 1-line block ×8, first 2 shown]
	v_sub_f16_e32 v4, v4, v71
	v_sub_f16_e32 v40, v74, v72
	v_add_f16_e32 v4, v4, v40
	v_add_f16_e32 v40, v71, v72
	v_fma_f16 v43, v40, -0.5, v64
	v_fma_f16 v40, v59, s7, v43
	v_fma_f16 v43, v59, s4, v43
	;; [unrolled: 1-line block ×9, first 2 shown]
	v_sub_f16_e32 v4, v53, v52
	v_sub_f16_e32 v53, v54, v55
	v_add_f16_e32 v59, v4, v53
	v_add_f16_e32 v4, v52, v55
	v_fma_f16 v4, v4, -0.5, v42
	v_fma_f16 v42, v79, s4, v4
	v_fma_f16 v64, v79, s7, v4
	v_lshlrev_b32_e32 v4, 2, v8
	v_lshlrev_b64 v[4:5], 2, v[4:5]
	v_fma_f16 v24, v24, s6, v73
	v_add_co_u32_e32 v4, vcc, s8, v4
	v_addc_co_u32_e32 v5, vcc, v47, v5, vcc
	global_load_dwordx4 v[52:55], v[4:5], off offset:1056
	ds_read_u16 v73, v12 offset:1870
	ds_read_u16 v60, v12 offset:220
	v_fma_f16 v4, v78, s5, v64
	s_waitcnt vmcnt(1)
	v_mul_f16_sdwa v8, v38, v48 dst_sel:DWORD dst_unused:UNUSED_PAD src0_sel:DWORD src1_sel:WORD_1
	v_mul_f16_sdwa v47, v36, v49 dst_sel:DWORD dst_unused:UNUSED_PAD src0_sel:DWORD src1_sel:WORD_1
	;; [unrolled: 1-line block ×4, first 2 shown]
	v_fma_f16 v42, v78, s10, v42
	v_fma_f16 v8, v61, v48, -v8
	s_waitcnt lgkmcnt(4)
	v_fma_f16 v47, v68, v49, -v47
	v_fma_f16 v64, v56, v51, -v64
	s_waitcnt lgkmcnt(1)
	v_fma_f16 v67, v73, v50, -v67
	v_mul_f16_sdwa v61, v61, v48 dst_sel:DWORD dst_unused:UNUSED_PAD src0_sel:DWORD src1_sel:WORD_1
	v_fma_f16 v42, v59, s6, v42
	v_fma_f16 v5, v59, s6, v4
	v_sub_f16_e32 v59, v8, v47
	v_sub_f16_e32 v71, v64, v67
	v_fma_f16 v48, v38, v48, v61
	v_mul_f16_sdwa v38, v56, v51 dst_sel:DWORD dst_unused:UNUSED_PAD src0_sel:DWORD src1_sel:WORD_1
	v_mul_f16_sdwa v56, v68, v49 dst_sel:DWORD dst_unused:UNUSED_PAD src0_sel:DWORD src1_sel:WORD_1
	v_add_f16_e32 v59, v59, v71
	v_add_f16_e32 v71, v47, v67
	v_fma_f16 v51, v39, v51, v38
	v_fma_f16 v49, v36, v49, v56
	v_mul_f16_sdwa v36, v73, v50 dst_sel:DWORD dst_unused:UNUSED_PAD src0_sel:DWORD src1_sel:WORD_1
	s_waitcnt lgkmcnt(0)
	v_fma_f16 v71, v71, -0.5, v60
	v_sub_f16_e32 v38, v48, v51
	v_fma_f16 v50, v37, v50, v36
	v_sub_f16_e32 v73, v47, v8
	v_sub_f16_e32 v74, v67, v64
	v_fma_f16 v39, v38, s4, v71
	v_sub_f16_e32 v36, v49, v50
	v_add_f16_e32 v73, v73, v74
	v_add_f16_e32 v74, v8, v64
	v_fma_f16 v4, v78, s7, v77
	v_fma_f16 v37, v36, s5, v39
	v_fma_f16 v74, v74, -0.5, v60
	v_fma_f16 v4, v79, s10, v4
	v_fma_f16 v56, v59, s6, v37
	v_sub_f16_e32 v37, v48, v49
	v_sub_f16_e32 v39, v51, v50
	v_fma_f16 v75, v36, s7, v74
	v_fma_f16 v74, v36, s4, v74
	;; [unrolled: 1-line block ×3, first 2 shown]
	v_add_f16_e32 v37, v37, v39
	v_add_f16_e32 v39, v49, v50
	v_fma_f16 v75, v38, s5, v75
	v_sub_f16_e32 v76, v49, v48
	v_sub_f16_e32 v77, v50, v51
	v_fma_f16 v74, v38, s10, v74
	v_fma_f16 v38, v38, s7, v71
	v_fma_f16 v39, v39, -0.5, v34
	v_sub_f16_e32 v61, v8, v64
	v_add_f16_e32 v76, v76, v77
	v_add_f16_e32 v77, v48, v51
	v_fma_f16 v36, v36, s10, v38
	v_fma_f16 v68, v61, s7, v39
	v_sub_f16_e32 v72, v47, v67
	v_fma_f16 v77, v77, -0.5, v34
	v_fma_f16 v59, v59, s6, v36
	v_fma_f16 v36, v61, s4, v39
	;; [unrolled: 1-line block ×12, first 2 shown]
	global_load_dwordx4 v[36:39], v[2:3], off offset:1056
	v_add_f16_e32 v8, v8, v60
	v_add_f16_e32 v8, v47, v8
	;; [unrolled: 1-line block ×6, first 2 shown]
	ds_read_u16 v12, v12
	ds_read_u16 v8, v13
	v_add_f16_e32 v2, v2, v50
	v_add_f16_e32 v34, v51, v2
	s_waitcnt vmcnt(1)
	v_mul_f16_sdwa v51, v69, v53 dst_sel:DWORD dst_unused:UNUSED_PAD src0_sel:DWORD src1_sel:WORD_1
	v_mul_f16_sdwa v2, v33, v55 dst_sel:DWORD dst_unused:UNUSED_PAD src0_sel:DWORD src1_sel:WORD_1
	;; [unrolled: 1-line block ×5, first 2 shown]
	v_fma_f16 v32, v32, v53, v51
	v_mul_f16_sdwa v51, v65, v54 dst_sel:DWORD dst_unused:UNUSED_PAD src0_sel:DWORD src1_sel:WORD_1
	v_fma_f16 v2, v57, v55, -v2
	v_fma_f16 v3, v65, v54, -v3
	;; [unrolled: 1-line block ×4, first 2 shown]
	v_mul_f16_sdwa v50, v62, v52 dst_sel:DWORD dst_unused:UNUSED_PAD src0_sel:DWORD src1_sel:WORD_1
	v_fma_f16 v29, v29, v54, v51
	v_mul_f16_sdwa v51, v57, v55 dst_sel:DWORD dst_unused:UNUSED_PAD src0_sel:DWORD src1_sel:WORD_1
	v_fma_f16 v31, v31, v52, v50
	v_fma_f16 v33, v33, v55, v51
	v_sub_f16_e32 v51, v13, v48
	v_sub_f16_e32 v52, v3, v2
	v_add_f16_e32 v53, v2, v48
	v_add_f16_e32 v51, v52, v51
	v_sub_f16_e32 v52, v32, v29
	s_waitcnt lgkmcnt(0)
	v_fma_f16 v53, v53, -0.5, v8
	v_fma_f16 v54, v52, s7, v53
	v_sub_f16_e32 v55, v31, v33
	v_fma_f16 v53, v52, s4, v53
	v_fma_f16 v54, v55, s5, v54
	;; [unrolled: 1-line block ×3, first 2 shown]
	v_add_f16_e32 v49, v8, v48
	v_fma_f16 v54, v51, s6, v54
	v_fma_f16 v51, v51, s6, v53
	v_sub_f16_e32 v53, v48, v13
	v_sub_f16_e32 v57, v2, v3
	v_add_f16_e32 v49, v13, v49
	v_add_f16_e32 v53, v57, v53
	;; [unrolled: 1-line block ×4, first 2 shown]
	v_fma_f16 v8, v57, -0.5, v8
	v_add_f16_e32 v49, v2, v49
	v_fma_f16 v57, v55, s4, v8
	v_fma_f16 v8, v55, s7, v8
	v_sub_f16_e32 v2, v48, v2
	v_add_f16_e32 v48, v33, v31
	v_fma_f16 v57, v52, s5, v57
	v_fma_f16 v8, v52, s10, v8
	v_fma_f16 v48, v48, -0.5, v23
	v_sub_f16_e32 v3, v13, v3
	v_fma_f16 v57, v53, s6, v57
	v_fma_f16 v52, v53, s6, v8
	v_sub_f16_e32 v8, v32, v31
	v_sub_f16_e32 v53, v29, v33
	v_fma_f16 v13, v3, s4, v48
	v_add_f16_e32 v8, v53, v8
	v_fma_f16 v13, v2, s10, v13
	v_fma_f16 v53, v8, s6, v13
	;; [unrolled: 1-line block ×5, first 2 shown]
	v_sub_f16_e32 v8, v31, v32
	v_sub_f16_e32 v13, v33, v29
	v_add_f16_e32 v8, v13, v8
	v_add_f16_e32 v13, v29, v32
	v_fma_f16 v13, v13, -0.5, v23
	v_add_f16_e32 v50, v23, v31
	v_fma_f16 v23, v2, s7, v13
	v_fma_f16 v2, v2, s4, v13
	v_add_f16_e32 v50, v32, v50
	v_fma_f16 v2, v3, s5, v2
	v_add_f16_e32 v50, v29, v50
	v_fma_f16 v23, v3, s10, v23
	v_fma_f16 v29, v8, s6, v2
	s_waitcnt vmcnt(0)
	v_mul_f16_sdwa v2, v21, v36 dst_sel:DWORD dst_unused:UNUSED_PAD src0_sel:DWORD src1_sel:WORD_1
	v_mul_f16_sdwa v3, v22, v37 dst_sel:DWORD dst_unused:UNUSED_PAD src0_sel:DWORD src1_sel:WORD_1
	v_mul_f16_sdwa v13, v25, v39 dst_sel:DWORD dst_unused:UNUSED_PAD src0_sel:DWORD src1_sel:WORD_1
	v_mul_f16_sdwa v31, v19, v38 dst_sel:DWORD dst_unused:UNUSED_PAD src0_sel:DWORD src1_sel:WORD_1
	v_fma_f16 v2, v63, v36, -v2
	v_fma_f16 v3, v70, v37, -v3
	;; [unrolled: 1-line block ×4, first 2 shown]
	v_add_f16_e32 v50, v33, v50
	v_fma_f16 v23, v8, s6, v23
	v_sub_f16_e32 v8, v2, v3
	v_sub_f16_e32 v32, v13, v31
	v_mul_f16_sdwa v33, v63, v36 dst_sel:DWORD dst_unused:UNUSED_PAD src0_sel:DWORD src1_sel:WORD_1
	v_sub_f16_e32 v62, v3, v2
	v_sub_f16_e32 v63, v31, v13
	v_add_f16_e32 v8, v8, v32
	v_add_f16_e32 v32, v3, v31
	v_fma_f16 v21, v21, v36, v33
	v_mul_f16_sdwa v33, v58, v39 dst_sel:DWORD dst_unused:UNUSED_PAD src0_sel:DWORD src1_sel:WORD_1
	v_sub_f16_e32 v55, v2, v13
	v_add_f16_e32 v62, v62, v63
	v_add_f16_e32 v63, v2, v13
	;; [unrolled: 1-line block ×3, first 2 shown]
	v_fma_f16 v32, v32, -0.5, v12
	v_fma_f16 v25, v25, v39, v33
	v_mul_f16_sdwa v39, v70, v37 dst_sel:DWORD dst_unused:UNUSED_PAD src0_sel:DWORD src1_sel:WORD_1
	v_sub_f16_e32 v60, v3, v31
	v_fma_f16 v63, v63, -0.5, v12
	v_add_f16_e32 v12, v3, v2
	v_mad_u64_u32 v[2:3], s[0:1], s2, v6, 0
	v_fma_f16 v22, v22, v37, v39
	v_mul_f16_sdwa v37, v66, v38 dst_sel:DWORD dst_unused:UNUSED_PAD src0_sel:DWORD src1_sel:WORD_1
	v_fma_f16 v19, v19, v38, v37
	v_sub_f16_e32 v38, v21, v22
	v_sub_f16_e32 v39, v25, v19
	;; [unrolled: 1-line block ×4, first 2 shown]
	v_add_f16_e32 v12, v31, v12
	v_add_f16_e32 v38, v38, v39
	;; [unrolled: 1-line block ×6, first 2 shown]
	v_mad_u64_u32 v[12:13], s[0:1], s3, v6, v[3:4]
	v_fma_f16 v39, v39, -0.5, v14
	v_fma_f16 v66, v66, -0.5, v14
	v_add_f16_e32 v14, v14, v21
	v_add_f16_e32 v3, v14, v22
	v_sub_f16_e32 v33, v21, v25
	v_add_f16_e32 v3, v3, v19
	v_add_u32_e32 v21, 0x113, v6
	v_add_f16_e32 v14, v25, v3
	v_mov_b32_e32 v3, v12
	v_mad_u64_u32 v[12:13], s[0:1], s2, v21, 0
	v_sub_f16_e32 v37, v22, v19
	v_mov_b32_e32 v19, s13
	v_add_co_u32_e32 v22, vcc, s12, v0
	v_addc_co_u32_e32 v19, vcc, v19, v1, vcc
	v_lshlrev_b64 v[0:1], 2, v[2:3]
	v_mov_b32_e32 v2, v13
	v_mad_u64_u32 v[2:3], s[0:1], s3, v21, v[2:3]
	v_add_co_u32_e32 v0, vcc, v22, v0
	v_addc_co_u32_e32 v1, vcc, v19, v1, vcc
	v_pack_b32_f16 v3, v14, v31
	v_mov_b32_e32 v13, v2
	global_store_dword v[0:1], v3, off
	v_lshlrev_b64 v[0:1], 2, v[12:13]
	v_add_u32_e32 v12, 0x226, v6
	v_mad_u64_u32 v[2:3], s[0:1], s2, v12, 0
	v_fma_f16 v36, v33, s4, v32
	v_fma_f16 v32, v33, s7, v32
	;; [unrolled: 1-line block ×4, first 2 shown]
	v_mad_u64_u32 v[12:13], s[0:1], s3, v12, v[3:4]
	v_add_u32_e32 v21, 0x339, v6
	v_fma_f16 v36, v8, s6, v36
	v_fma_f16 v8, v8, s6, v32
	;; [unrolled: 1-line block ×3, first 2 shown]
	v_mad_u64_u32 v[13:14], s[0:1], s2, v21, 0
	v_fma_f16 v32, v60, s5, v32
	v_fma_f16 v32, v38, s6, v32
	v_add_co_u32_e32 v0, vcc, v22, v0
	v_fma_f16 v64, v37, s7, v63
	v_fma_f16 v63, v37, s4, v63
	v_addc_co_u32_e32 v1, vcc, v19, v1, vcc
	v_pack_b32_f16 v8, v32, v8
	v_mov_b32_e32 v3, v12
	v_fma_f16 v64, v33, s5, v64
	v_fma_f16 v63, v33, s10, v63
	global_store_dword v[0:1], v8, off
	v_lshlrev_b64 v[0:1], 2, v[2:3]
	v_mov_b32_e32 v2, v14
	v_fma_f16 v64, v62, s6, v64
	v_fma_f16 v62, v62, s6, v63
	;; [unrolled: 1-line block ×3, first 2 shown]
	v_mad_u64_u32 v[2:3], s[0:1], s3, v21, v[2:3]
	v_fma_f16 v63, v55, s5, v63
	v_fma_f16 v63, v65, s6, v63
	v_add_co_u32_e32 v0, vcc, v22, v0
	v_addc_co_u32_e32 v1, vcc, v19, v1, vcc
	v_pack_b32_f16 v3, v63, v62
	v_add_u32_e32 v8, 0x44c, v6
	global_store_dword v[0:1], v3, off
	v_mov_b32_e32 v14, v2
	v_mad_u64_u32 v[2:3], s[0:1], s2, v8, 0
	v_fma_f16 v67, v60, s4, v66
	v_lshlrev_b64 v[0:1], 2, v[13:14]
	v_mad_u64_u32 v[12:13], s[0:1], s3, v8, v[3:4]
	v_fma_f16 v67, v55, s10, v67
	v_fma_f16 v67, v65, s6, v67
	v_add_co_u32_e32 v0, vcc, v22, v0
	v_addc_co_u32_e32 v1, vcc, v19, v1, vcc
	v_pack_b32_f16 v3, v67, v64
	global_store_dword v[0:1], v3, off
	v_mov_b32_e32 v3, v12
	v_lshlrev_b64 v[0:1], 2, v[2:3]
	v_mad_u64_u32 v[2:3], s[4:5], s2, v7, 0
	v_fma_f16 v58, v55, s7, v39
	v_fma_f16 v58, v60, s10, v58
	v_mad_u64_u32 v[7:8], s[4:5], s3, v7, v[3:4]
	v_add_u32_e32 v8, 0x14a, v6
	v_mad_u64_u32 v[12:13], s[4:5], s2, v8, 0
	v_fma_f16 v58, v38, s6, v58
	v_add_co_u32_e32 v0, vcc, v22, v0
	v_addc_co_u32_e32 v1, vcc, v19, v1, vcc
	v_pack_b32_f16 v14, v58, v36
	v_mov_b32_e32 v3, v7
	global_store_dword v[0:1], v14, off
	v_lshlrev_b64 v[0:1], 2, v[2:3]
	v_mov_b32_e32 v2, v13
	v_mad_u64_u32 v[2:3], s[4:5], s3, v8, v[2:3]
	v_add_co_u32_e32 v0, vcc, v22, v0
	v_addc_co_u32_e32 v1, vcc, v19, v1, vcc
	v_pack_b32_f16 v3, v50, v49
	v_add_u32_e32 v7, 0x25d, v6
	global_store_dword v[0:1], v3, off
	v_mov_b32_e32 v13, v2
	v_mad_u64_u32 v[2:3], s[4:5], s2, v7, 0
	v_lshlrev_b64 v[0:1], 2, v[12:13]
	v_pack_b32_f16 v14, v29, v52
	v_mad_u64_u32 v[7:8], s[4:5], s3, v7, v[3:4]
	v_add_u32_e32 v8, 0x370, v6
	v_mad_u64_u32 v[12:13], s[4:5], s2, v8, 0
	v_add_co_u32_e32 v0, vcc, v22, v0
	v_addc_co_u32_e32 v1, vcc, v19, v1, vcc
	v_mov_b32_e32 v3, v7
	global_store_dword v[0:1], v14, off
	v_lshlrev_b64 v[0:1], 2, v[2:3]
	v_mov_b32_e32 v2, v13
	v_mad_u64_u32 v[2:3], s[4:5], s3, v8, v[2:3]
	v_add_co_u32_e32 v0, vcc, v22, v0
	v_addc_co_u32_e32 v1, vcc, v19, v1, vcc
	v_pack_b32_f16 v3, v48, v51
	v_add_u32_e32 v7, 0x483, v6
	global_store_dword v[0:1], v3, off
	v_mov_b32_e32 v13, v2
	v_mad_u64_u32 v[2:3], s[4:5], s2, v7, 0
	v_lshlrev_b64 v[0:1], 2, v[12:13]
	v_mad_u64_u32 v[12:13], s[4:5], s2, v9, 0
	v_mad_u64_u32 v[7:8], s[4:5], s3, v7, v[3:4]
	v_add_co_u32_e32 v0, vcc, v22, v0
	v_addc_co_u32_e32 v1, vcc, v19, v1, vcc
	v_pack_b32_f16 v14, v53, v54
	v_mov_b32_e32 v3, v7
	global_store_dword v[0:1], v14, off
	v_lshlrev_b64 v[0:1], 2, v[2:3]
	v_mov_b32_e32 v2, v13
	v_mad_u64_u32 v[2:3], s[4:5], s3, v9, v[2:3]
	v_add_co_u32_e32 v0, vcc, v22, v0
	v_addc_co_u32_e32 v1, vcc, v19, v1, vcc
	v_pack_b32_f16 v3, v23, v57
	v_add_u32_e32 v7, 0x181, v6
	global_store_dword v[0:1], v3, off
	v_mov_b32_e32 v13, v2
	v_mad_u64_u32 v[2:3], s[4:5], s2, v7, 0
	v_lshlrev_b64 v[0:1], 2, v[12:13]
	v_add_u32_e32 v13, 0x294, v6
	v_mad_u64_u32 v[7:8], s[4:5], s3, v7, v[3:4]
	v_mad_u64_u32 v[8:9], s[4:5], s2, v13, 0
	v_add_co_u32_e32 v0, vcc, v22, v0
	v_addc_co_u32_e32 v1, vcc, v19, v1, vcc
	v_pack_b32_f16 v12, v34, v47
	v_mov_b32_e32 v3, v7
	global_store_dword v[0:1], v12, off
	v_lshlrev_b64 v[0:1], 2, v[2:3]
	v_mov_b32_e32 v2, v9
	v_mad_u64_u32 v[2:3], s[4:5], s3, v13, v[2:3]
	v_add_co_u32_e32 v0, vcc, v22, v0
	v_addc_co_u32_e32 v1, vcc, v19, v1, vcc
	v_pack_b32_f16 v3, v61, v59
	v_add_u32_e32 v7, 0x3a7, v6
	global_store_dword v[0:1], v3, off
	v_mov_b32_e32 v9, v2
	v_mad_u64_u32 v[2:3], s[4:5], s2, v7, 0
	v_lshlrev_b64 v[0:1], 2, v[8:9]
	v_add_u32_e32 v13, 0x4ba, v6
	v_mad_u64_u32 v[7:8], s[4:5], s3, v7, v[3:4]
	v_mad_u64_u32 v[8:9], s[4:5], s2, v13, 0
	v_fma_f16 v74, v76, s6, v74
	v_add_co_u32_e32 v0, vcc, v22, v0
	v_addc_co_u32_e32 v1, vcc, v19, v1, vcc
	v_pack_b32_f16 v12, v74, v73
	v_mov_b32_e32 v3, v7
	global_store_dword v[0:1], v12, off
	v_lshlrev_b64 v[0:1], 2, v[2:3]
	v_mov_b32_e32 v2, v9
	v_mad_u64_u32 v[2:3], s[4:5], s3, v13, v[2:3]
	v_fma_f16 v78, v76, s6, v78
	v_add_co_u32_e32 v0, vcc, v22, v0
	v_addc_co_u32_e32 v1, vcc, v19, v1, vcc
	v_pack_b32_f16 v3, v78, v75
	global_store_dword v[0:1], v3, off
	v_mov_b32_e32 v9, v2
	v_mad_u64_u32 v[2:3], s[4:5], s2, v11, 0
	v_lshlrev_b64 v[0:1], 2, v[8:9]
	v_pack_b32_f16 v12, v68, v56
	v_mad_u64_u32 v[7:8], s[4:5], s3, v11, v[3:4]
	v_add_u32_e32 v11, 0x1b8, v6
	v_mad_u64_u32 v[8:9], s[4:5], s2, v11, 0
	v_add_co_u32_e32 v0, vcc, v22, v0
	v_addc_co_u32_e32 v1, vcc, v19, v1, vcc
	v_mov_b32_e32 v3, v7
	global_store_dword v[0:1], v12, off
	v_lshlrev_b64 v[0:1], 2, v[2:3]
	v_mov_b32_e32 v2, v9
	v_mad_u64_u32 v[2:3], s[4:5], s3, v11, v[2:3]
	v_add_co_u32_e32 v0, vcc, v22, v0
	v_addc_co_u32_e32 v1, vcc, v19, v1, vcc
	v_pack_b32_f16 v3, v46, v45
	v_add_u32_e32 v7, 0x2cb, v6
	global_store_dword v[0:1], v3, off
	v_mov_b32_e32 v9, v2
	v_mad_u64_u32 v[2:3], s[4:5], s2, v7, 0
	v_lshlrev_b64 v[0:1], 2, v[8:9]
	v_add_u32_e32 v12, 0x3de, v6
	v_mad_u64_u32 v[7:8], s[4:5], s3, v7, v[3:4]
	v_mad_u64_u32 v[8:9], s[4:5], s2, v12, 0
	v_add_co_u32_e32 v0, vcc, v22, v0
	v_addc_co_u32_e32 v1, vcc, v19, v1, vcc
	v_pack_b32_f16 v11, v44, v41
	v_mov_b32_e32 v3, v7
	global_store_dword v[0:1], v11, off
	v_lshlrev_b64 v[0:1], 2, v[2:3]
	v_mov_b32_e32 v2, v9
	v_mad_u64_u32 v[2:3], s[4:5], s3, v12, v[2:3]
	v_add_co_u32_e32 v0, vcc, v22, v0
	v_addc_co_u32_e32 v1, vcc, v19, v1, vcc
	v_pack_b32_f16 v3, v5, v43
	v_add_u32_e32 v5, 0x4f1, v6
	s_mov_b32 s1, 0xdca01dcb
	global_store_dword v[0:1], v3, off
	v_mov_b32_e32 v9, v2
	v_mad_u64_u32 v[2:3], s[4:5], s2, v5, 0
	v_mul_hi_u32 v7, v10, s1
	s_movk_i32 s0, 0x44c
	v_mad_u64_u32 v[5:6], s[4:5], s3, v5, v[3:4]
	v_sub_u32_e32 v3, v10, v7
	v_lshrrev_b32_e32 v3, 1, v3
	v_add_u32_e32 v3, v3, v7
	v_lshrrev_b32_e32 v3, 8, v3
	v_lshlrev_b64 v[0:1], 2, v[8:9]
	v_mad_u32_u24 v9, v3, s0, v10
	v_mad_u64_u32 v[6:7], s[0:1], s2, v9, 0
	v_add_co_u32_e32 v0, vcc, v22, v0
	v_addc_co_u32_e32 v1, vcc, v19, v1, vcc
	v_pack_b32_f16 v8, v42, v40
	v_mov_b32_e32 v3, v5
	global_store_dword v[0:1], v8, off
	v_lshlrev_b64 v[0:1], 2, v[2:3]
	v_mov_b32_e32 v2, v7
	v_mad_u64_u32 v[2:3], s[0:1], s3, v9, v[2:3]
	v_add_co_u32_e32 v0, vcc, v22, v0
	v_addc_co_u32_e32 v1, vcc, v19, v1, vcc
	v_pack_b32_f16 v3, v4, v35
	v_add_u32_e32 v4, 0x113, v9
	global_store_dword v[0:1], v3, off
	v_mov_b32_e32 v7, v2
	v_mad_u64_u32 v[2:3], s[0:1], s2, v4, 0
	v_lshlrev_b64 v[0:1], 2, v[6:7]
	v_add_u32_e32 v7, 0x226, v9
	v_mad_u64_u32 v[3:4], s[0:1], s3, v4, v[3:4]
	v_mad_u64_u32 v[4:5], s[0:1], s2, v7, 0
	v_add_co_u32_e32 v0, vcc, v22, v0
	v_addc_co_u32_e32 v1, vcc, v19, v1, vcc
	v_pack_b32_f16 v6, v30, v28
	global_store_dword v[0:1], v6, off
	v_lshlrev_b64 v[0:1], 2, v[2:3]
	v_mov_b32_e32 v2, v5
	v_mad_u64_u32 v[2:3], s[0:1], s3, v7, v[2:3]
	v_fma_f16 v26, v80, s6, v26
	v_add_co_u32_e32 v0, vcc, v22, v0
	v_addc_co_u32_e32 v1, vcc, v19, v1, vcc
	v_pack_b32_f16 v3, v27, v26
	v_mov_b32_e32 v5, v2
	global_store_dword v[0:1], v3, off
	v_lshlrev_b64 v[0:1], 2, v[4:5]
	v_add_u32_e32 v4, 0x339, v9
	v_mad_u64_u32 v[2:3], s[0:1], s2, v4, 0
	v_add_u32_e32 v7, 0x44c, v9
	v_add_co_u32_e32 v0, vcc, v22, v0
	v_mad_u64_u32 v[3:4], s[0:1], s3, v4, v[3:4]
	v_mad_u64_u32 v[4:5], s[0:1], s2, v7, 0
	v_addc_co_u32_e32 v1, vcc, v19, v1, vcc
	v_pack_b32_f16 v6, v24, v20
	global_store_dword v[0:1], v6, off
	v_lshlrev_b64 v[0:1], 2, v[2:3]
	v_mov_b32_e32 v2, v5
	v_mad_u64_u32 v[2:3], s[0:1], s3, v7, v[2:3]
	v_add_co_u32_e32 v0, vcc, v22, v0
	v_addc_co_u32_e32 v1, vcc, v19, v1, vcc
	v_pack_b32_f16 v3, v18, v17
	v_mov_b32_e32 v5, v2
	global_store_dword v[0:1], v3, off
	v_lshlrev_b64 v[0:1], 2, v[4:5]
	v_pack_b32_f16 v2, v16, v15
	v_add_co_u32_e32 v0, vcc, v22, v0
	v_addc_co_u32_e32 v1, vcc, v19, v1, vcc
	global_store_dword v[0:1], v2, off
.LBB0_21:
	s_endpgm
	.section	.rodata,"a",@progbits
	.p2align	6, 0x0
	.amdhsa_kernel fft_rtc_back_len1375_factors_11_5_5_5_wgs_55_tpt_55_halfLds_half_ip_CI_sbrr_dirReg
		.amdhsa_group_segment_fixed_size 0
		.amdhsa_private_segment_fixed_size 0
		.amdhsa_kernarg_size 88
		.amdhsa_user_sgpr_count 6
		.amdhsa_user_sgpr_private_segment_buffer 1
		.amdhsa_user_sgpr_dispatch_ptr 0
		.amdhsa_user_sgpr_queue_ptr 0
		.amdhsa_user_sgpr_kernarg_segment_ptr 1
		.amdhsa_user_sgpr_dispatch_id 0
		.amdhsa_user_sgpr_flat_scratch_init 0
		.amdhsa_user_sgpr_private_segment_size 0
		.amdhsa_uses_dynamic_stack 0
		.amdhsa_system_sgpr_private_segment_wavefront_offset 0
		.amdhsa_system_sgpr_workgroup_id_x 1
		.amdhsa_system_sgpr_workgroup_id_y 0
		.amdhsa_system_sgpr_workgroup_id_z 0
		.amdhsa_system_sgpr_workgroup_info 0
		.amdhsa_system_vgpr_workitem_id 0
		.amdhsa_next_free_vgpr 107
		.amdhsa_next_free_sgpr 55
		.amdhsa_reserve_vcc 1
		.amdhsa_reserve_flat_scratch 0
		.amdhsa_float_round_mode_32 0
		.amdhsa_float_round_mode_16_64 0
		.amdhsa_float_denorm_mode_32 3
		.amdhsa_float_denorm_mode_16_64 3
		.amdhsa_dx10_clamp 1
		.amdhsa_ieee_mode 1
		.amdhsa_fp16_overflow 0
		.amdhsa_exception_fp_ieee_invalid_op 0
		.amdhsa_exception_fp_denorm_src 0
		.amdhsa_exception_fp_ieee_div_zero 0
		.amdhsa_exception_fp_ieee_overflow 0
		.amdhsa_exception_fp_ieee_underflow 0
		.amdhsa_exception_fp_ieee_inexact 0
		.amdhsa_exception_int_div_zero 0
	.end_amdhsa_kernel
	.text
.Lfunc_end0:
	.size	fft_rtc_back_len1375_factors_11_5_5_5_wgs_55_tpt_55_halfLds_half_ip_CI_sbrr_dirReg, .Lfunc_end0-fft_rtc_back_len1375_factors_11_5_5_5_wgs_55_tpt_55_halfLds_half_ip_CI_sbrr_dirReg
                                        ; -- End function
	.section	.AMDGPU.csdata,"",@progbits
; Kernel info:
; codeLenInByte = 21064
; NumSgprs: 59
; NumVgprs: 107
; ScratchSize: 0
; MemoryBound: 0
; FloatMode: 240
; IeeeMode: 1
; LDSByteSize: 0 bytes/workgroup (compile time only)
; SGPRBlocks: 7
; VGPRBlocks: 26
; NumSGPRsForWavesPerEU: 59
; NumVGPRsForWavesPerEU: 107
; Occupancy: 2
; WaveLimiterHint : 1
; COMPUTE_PGM_RSRC2:SCRATCH_EN: 0
; COMPUTE_PGM_RSRC2:USER_SGPR: 6
; COMPUTE_PGM_RSRC2:TRAP_HANDLER: 0
; COMPUTE_PGM_RSRC2:TGID_X_EN: 1
; COMPUTE_PGM_RSRC2:TGID_Y_EN: 0
; COMPUTE_PGM_RSRC2:TGID_Z_EN: 0
; COMPUTE_PGM_RSRC2:TIDIG_COMP_CNT: 0
	.type	__hip_cuid_1463c4376fa36349,@object ; @__hip_cuid_1463c4376fa36349
	.section	.bss,"aw",@nobits
	.globl	__hip_cuid_1463c4376fa36349
__hip_cuid_1463c4376fa36349:
	.byte	0                               ; 0x0
	.size	__hip_cuid_1463c4376fa36349, 1

	.ident	"AMD clang version 19.0.0git (https://github.com/RadeonOpenCompute/llvm-project roc-6.4.0 25133 c7fe45cf4b819c5991fe208aaa96edf142730f1d)"
	.section	".note.GNU-stack","",@progbits
	.addrsig
	.addrsig_sym __hip_cuid_1463c4376fa36349
	.amdgpu_metadata
---
amdhsa.kernels:
  - .args:
      - .actual_access:  read_only
        .address_space:  global
        .offset:         0
        .size:           8
        .value_kind:     global_buffer
      - .offset:         8
        .size:           8
        .value_kind:     by_value
      - .actual_access:  read_only
        .address_space:  global
        .offset:         16
        .size:           8
        .value_kind:     global_buffer
      - .actual_access:  read_only
        .address_space:  global
        .offset:         24
        .size:           8
        .value_kind:     global_buffer
      - .offset:         32
        .size:           8
        .value_kind:     by_value
      - .actual_access:  read_only
        .address_space:  global
        .offset:         40
        .size:           8
        .value_kind:     global_buffer
      - .actual_access:  read_only
        .address_space:  global
        .offset:         48
        .size:           8
        .value_kind:     global_buffer
      - .offset:         56
        .size:           4
        .value_kind:     by_value
      - .actual_access:  read_only
        .address_space:  global
        .offset:         64
        .size:           8
        .value_kind:     global_buffer
      - .actual_access:  read_only
        .address_space:  global
        .offset:         72
        .size:           8
        .value_kind:     global_buffer
      - .address_space:  global
        .offset:         80
        .size:           8
        .value_kind:     global_buffer
    .group_segment_fixed_size: 0
    .kernarg_segment_align: 8
    .kernarg_segment_size: 88
    .language:       OpenCL C
    .language_version:
      - 2
      - 0
    .max_flat_workgroup_size: 55
    .name:           fft_rtc_back_len1375_factors_11_5_5_5_wgs_55_tpt_55_halfLds_half_ip_CI_sbrr_dirReg
    .private_segment_fixed_size: 0
    .sgpr_count:     59
    .sgpr_spill_count: 0
    .symbol:         fft_rtc_back_len1375_factors_11_5_5_5_wgs_55_tpt_55_halfLds_half_ip_CI_sbrr_dirReg.kd
    .uniform_work_group_size: 1
    .uses_dynamic_stack: false
    .vgpr_count:     107
    .vgpr_spill_count: 0
    .wavefront_size: 64
amdhsa.target:   amdgcn-amd-amdhsa--gfx906
amdhsa.version:
  - 1
  - 2
...

	.end_amdgpu_metadata
